;; amdgpu-corpus repo=ROCm/rocFFT kind=compiled arch=gfx1030 opt=O3
	.text
	.amdgcn_target "amdgcn-amd-amdhsa--gfx1030"
	.amdhsa_code_object_version 6
	.protected	bluestein_single_back_len1925_dim1_sp_op_CI_CI ; -- Begin function bluestein_single_back_len1925_dim1_sp_op_CI_CI
	.globl	bluestein_single_back_len1925_dim1_sp_op_CI_CI
	.p2align	8
	.type	bluestein_single_back_len1925_dim1_sp_op_CI_CI,@function
bluestein_single_back_len1925_dim1_sp_op_CI_CI: ; @bluestein_single_back_len1925_dim1_sp_op_CI_CI
; %bb.0:
	s_load_dwordx4 s[12:15], s[4:5], 0x28
	v_mul_u32_u24_e32 v1, 0x4a8, v0
	s_mov_b64 s[22:23], s[2:3]
	s_mov_b64 s[20:21], s[0:1]
	v_mov_b32_e32 v20, 0
	s_add_u32 s20, s20, s7
	v_lshrrev_b32_e32 v1, 16, v1
	s_addc_u32 s21, s21, 0
	s_mov_b32 s0, exec_lo
	v_add_nc_u32_e32 v19, s6, v1
	s_waitcnt lgkmcnt(0)
	v_cmpx_gt_u64_e64 s[12:13], v[19:20]
	s_cbranch_execz .LBB0_10
; %bb.1:
	s_clause 0x1
	s_load_dwordx4 s[0:3], s[4:5], 0x18
	s_load_dwordx4 s[8:11], s[4:5], 0x0
	v_mul_lo_u16 v1, v1, 55
	v_mov_b32_e32 v20, v19
	v_sub_nc_u16 v12, v0, v1
	v_and_b32_e32 v131, 0xffff, v12
	v_lshlrev_b32_e32 v68, 3, v131
	v_add_co_u32 v233, null, 0xa5, v131
	s_waitcnt lgkmcnt(0)
	s_load_dwordx4 s[16:19], s[0:1], 0x0
	s_clause 0x2
	global_load_dwordx2 v[142:143], v68, s[8:9]
	global_load_dwordx2 v[138:139], v68, s[8:9] offset:440
	global_load_dwordx2 v[106:107], v68, s[8:9] offset:880
	v_add_co_u32 v0, s0, s8, v68
	v_add_co_ci_u32_e64 v1, null, s9, 0, s0
	v_add_nc_u32_e32 v67, 0x1c00, v68
	v_add_co_u32 v2, vcc_lo, 0x800, v0
	v_add_co_ci_u32_e32 v3, vcc_lo, 0, v1, vcc_lo
	v_add_co_u32 v4, vcc_lo, 0x1000, v0
	v_add_co_ci_u32_e32 v5, vcc_lo, 0, v1, vcc_lo
	;; [unrolled: 2-line block ×3, first 2 shown]
	s_waitcnt lgkmcnt(0)
	v_mad_u64_u32 v[13:14], null, s18, v19, 0
	v_mad_u64_u32 v[15:16], null, s16, v131, 0
	v_add_co_u32 v8, vcc_lo, 0x2000, v0
	v_add_co_ci_u32_e32 v9, vcc_lo, 0, v1, vcc_lo
	v_add_co_u32 v10, vcc_lo, 0x2800, v0
	v_add_co_ci_u32_e32 v11, vcc_lo, 0, v1, vcc_lo
	s_clause 0x3
	global_load_dwordx2 v[158:159], v[2:3], off offset:152
	global_load_dwordx2 v[154:155], v[4:5], off offset:304
	;; [unrolled: 1-line block ×4, first 2 shown]
	buffer_store_dword v20, off, s[20:23], 0 offset:284 ; 4-byte Folded Spill
	buffer_store_dword v21, off, s[20:23], 0 offset:288 ; 4-byte Folded Spill
	v_add_co_u32 v17, vcc_lo, 0x3000, v0
	v_mad_u64_u32 v[19:20], null, s19, v19, v[14:15]
	v_add_co_ci_u32_e32 v18, vcc_lo, 0, v1, vcc_lo
	v_mad_u64_u32 v[20:21], null, s17, v131, v[16:17]
	s_mul_i32 s1, s17, 0x898
	s_mul_hi_u32 s7, s16, 0x898
	v_mov_b32_e32 v14, v19
	s_mul_i32 s0, s16, 0x898
	s_add_i32 s1, s7, s1
	s_clause 0x1
	global_load_dwordx2 v[152:153], v[8:9], off offset:608
	global_load_dwordx2 v[134:135], v[8:9], off offset:1048
	v_mov_b32_e32 v16, v20
	v_lshlrev_b64 v[13:14], 3, v[13:14]
	s_clause 0x3
	global_load_dwordx2 v[146:147], v[10:11], off offset:760
	global_load_dwordx2 v[136:137], v[10:11], off offset:1200
	;; [unrolled: 1-line block ×4, first 2 shown]
	s_mul_hi_u32 s13, s16, 0xffffce28
	s_mul_i32 s12, s17, 0xffffce28
	v_lshlrev_b64 v[15:16], 3, v[15:16]
	s_mul_i32 s6, s16, 0xffffce28
	v_add_co_u32 v13, vcc_lo, s14, v13
	v_add_co_ci_u32_e32 v14, vcc_lo, s15, v14, vcc_lo
	s_sub_i32 s7, s13, s16
	v_add_co_u32 v13, vcc_lo, v13, v15
	v_add_co_ci_u32_e32 v14, vcc_lo, v14, v16, vcc_lo
	s_add_i32 s7, s7, s12
	v_add_co_u32 v15, vcc_lo, v13, s0
	v_add_co_ci_u32_e32 v16, vcc_lo, s1, v14, vcc_lo
	s_clause 0x1
	global_load_dwordx2 v[21:22], v[13:14], off
	global_load_dwordx2 v[23:24], v[15:16], off
	v_add_co_u32 v19, vcc_lo, v15, s0
	v_add_co_ci_u32_e32 v20, vcc_lo, s1, v16, vcc_lo
	s_load_dwordx2 s[12:13], s[4:5], 0x38
	v_add_co_u32 v13, vcc_lo, v19, s0
	v_add_co_ci_u32_e32 v14, vcc_lo, s1, v20, vcc_lo
	global_load_dwordx2 v[19:20], v[19:20], off
	v_add_co_u32 v15, vcc_lo, v13, s0
	v_add_co_ci_u32_e32 v16, vcc_lo, s1, v14, vcc_lo
	global_load_dwordx2 v[25:26], v[13:14], off
	v_add_nc_u32_e32 v87, 0x3800, v68
	global_load_dwordx2 v[27:28], v[15:16], off
	v_add_co_u32 v13, vcc_lo, v15, s0
	v_add_co_ci_u32_e32 v14, vcc_lo, s1, v16, vcc_lo
	v_add_co_u32 v15, vcc_lo, v13, s0
	v_add_co_ci_u32_e32 v16, vcc_lo, s1, v14, vcc_lo
	global_load_dwordx2 v[29:30], v[13:14], off
	v_add_co_u32 v13, vcc_lo, v15, s6
	v_add_co_ci_u32_e32 v14, vcc_lo, s7, v16, vcc_lo
	global_load_dwordx2 v[31:32], v[15:16], off
	;; [unrolled: 3-line block ×11, first 2 shown]
	v_add_co_u32 v13, vcc_lo, v15, s0
	v_add_co_ci_u32_e32 v14, vcc_lo, s1, v16, vcc_lo
	s_clause 0x1
	global_load_dwordx2 v[148:149], v[2:3], off offset:592
	global_load_dwordx2 v[125:126], v[2:3], off offset:1032
	global_load_dwordx2 v[51:52], v[15:16], off
	s_clause 0x1
	global_load_dwordx2 v[150:151], v[4:5], off offset:744
	global_load_dwordx2 v[123:124], v[4:5], off offset:1184
	global_load_dwordx2 v[53:54], v[13:14], off
	v_add_co_u32 v13, vcc_lo, v13, s0
	v_add_co_ci_u32_e32 v14, vcc_lo, s1, v14, vcc_lo
	s_clause 0x1
	global_load_dwordx2 v[127:128], v[6:7], off offset:1336
	global_load_dwordx2 v[132:133], v[8:9], off offset:1488
	v_add_co_u32 v15, vcc_lo, v13, s0
	v_add_co_ci_u32_e32 v16, vcc_lo, s1, v14, vcc_lo
	global_load_dwordx2 v[55:56], v[13:14], off
	v_add_co_u32 v13, vcc_lo, v15, s0
	v_add_co_ci_u32_e32 v14, vcc_lo, s1, v16, vcc_lo
	v_add_co_u32 v57, vcc_lo, v13, s6
	v_add_co_ci_u32_e32 v58, vcc_lo, s7, v14, vcc_lo
	global_load_dwordx2 v[59:60], v[15:16], off
	global_load_dwordx2 v[121:122], v[10:11], off offset:1640
	global_load_dwordx2 v[61:62], v[13:14], off
	global_load_dwordx2 v[117:118], v[17:18], off offset:1792
	global_load_dwordx2 v[63:64], v[57:58], off
	v_add_co_u32 v13, vcc_lo, v57, s0
	v_add_co_ci_u32_e32 v14, vcc_lo, s1, v58, vcc_lo
	global_load_dwordx2 v[119:120], v68, s[8:9] offset:1320
	v_add_co_u32 v15, vcc_lo, v13, s0
	v_add_co_ci_u32_e32 v16, vcc_lo, s1, v14, vcc_lo
	global_load_dwordx2 v[57:58], v[13:14], off
	v_add_co_u32 v13, vcc_lo, v15, s0
	v_add_co_ci_u32_e32 v14, vcc_lo, s1, v16, vcc_lo
	global_load_dwordx2 v[112:113], v[2:3], off offset:1472
	v_add_co_u32 v65, vcc_lo, v13, s0
	v_add_co_ci_u32_e32 v66, vcc_lo, s1, v14, vcc_lo
	global_load_dwordx2 v[69:70], v[15:16], off
	global_load_dwordx2 v[114:115], v[4:5], off offset:1624
	global_load_dwordx2 v[71:72], v[13:14], off
	global_load_dwordx2 v[110:111], v[6:7], off offset:1776
	global_load_dwordx2 v[73:74], v[65:66], off
	v_add_co_u32 v4, vcc_lo, v65, s0
	v_add_co_ci_u32_e32 v5, vcc_lo, s1, v66, vcc_lo
	global_load_dwordx2 v[104:105], v[8:9], off offset:1928
	v_add_co_u32 v13, vcc_lo, v4, s0
	v_add_co_ci_u32_e32 v14, vcc_lo, s1, v5, vcc_lo
	v_add_co_u32 v0, vcc_lo, 0x3800, v0
	v_add_co_ci_u32_e32 v1, vcc_lo, 0, v1, vcc_lo
	;; [unrolled: 2-line block ×3, first 2 shown]
	global_load_dwordx2 v[65:66], v[4:5], off
	global_load_dwordx2 v[108:109], v[17:18], off offset:32
	global_load_dwordx2 v[75:76], v[13:14], off
	global_load_dwordx2 v[98:99], v[0:1], off offset:184
	global_load_dwordx2 v[77:78], v[15:16], off
	v_add_co_u32 v4, vcc_lo, v15, s0
	v_add_co_ci_u32_e32 v5, vcc_lo, s1, v16, vcc_lo
	global_load_dwordx2 v[100:101], v[2:3], off offset:1912
	v_add_co_u32 v13, vcc_lo, v4, s0
	v_add_co_ci_u32_e32 v14, vcc_lo, s1, v5, vcc_lo
	global_load_dwordx2 v[79:80], v[4:5], off
	v_add_co_u32 v4, vcc_lo, v13, s0
	v_add_co_ci_u32_e32 v5, vcc_lo, s1, v14, vcc_lo
	global_load_dwordx2 v[102:103], v68, s[8:9] offset:1760
	v_add_co_u32 v2, vcc_lo, v4, s0
	v_add_co_ci_u32_e32 v3, vcc_lo, s1, v5, vcc_lo
	global_load_dwordx2 v[81:82], v[13:14], off
	global_load_dwordx2 v[90:91], v[6:7], off offset:16
	global_load_dwordx2 v[83:84], v[4:5], off
	global_load_dwordx2 v[92:93], v[8:9], off offset:168
	global_load_dwordx2 v[8:9], v[2:3], off
	v_add_co_u32 v2, vcc_lo, v2, s0
	v_add_co_ci_u32_e32 v3, vcc_lo, s1, v3, vcc_lo
	global_load_dwordx2 v[88:89], v[10:11], off offset:320
	v_add_co_u32 v4, vcc_lo, v2, s0
	v_add_co_ci_u32_e32 v5, vcc_lo, s1, v3, vcc_lo
	global_load_dwordx2 v[2:3], v[2:3], off
	s_clause 0x1
	global_load_dwordx2 v[94:95], v[17:18], off offset:472
	global_load_dwordx2 v[96:97], v[0:1], off offset:624
	global_load_dwordx2 v[0:1], v[4:5], off
	s_load_dwordx4 s[4:7], s[2:3], 0x0
	v_add_nc_u32_e32 v7, 0x800, v68
	v_add_nc_u32_e32 v13, 0x1000, v68
	;; [unrolled: 1-line block ×4, first 2 shown]
	v_add_co_u32 v213, s0, v131, 55
	v_add_co_ci_u32_e64 v116, null, 0, 0, s0
	v_add_co_u32 v212, s0, 0x6e, v131
	v_add_co_ci_u32_e64 v4, null, 0, 0, s0
	v_add_nc_u32_e32 v4, 0x2800, v68
	v_add_nc_u32_e32 v16, 0x3000, v68
	;; [unrolled: 1-line block ×5, first 2 shown]
	v_add_co_u32 v234, s0, 0xdc, v131
	v_cmp_gt_u16_e32 vcc_lo, 10, v12
	s_waitcnt vmcnt(56)
	v_mul_f32_e32 v85, v22, v143
	s_waitcnt vmcnt(55)
	v_mul_f32_e32 v10, v24, v159
	v_mul_f32_e32 v11, v23, v159
	;; [unrolled: 1-line block ×3, first 2 shown]
	v_fmac_f32_e32 v85, v21, v142
	v_fmac_f32_e32 v10, v23, v158
	buffer_store_dword v158, off, s[20:23], 0 offset:356 ; 4-byte Folded Spill
	buffer_store_dword v159, off, s[20:23], 0 offset:360 ; 4-byte Folded Spill
	;; [unrolled: 1-line block ×4, first 2 shown]
	s_waitcnt vmcnt(54)
	v_mul_f32_e32 v18, v20, v155
	v_fmac_f32_e32 v18, v19, v154
	s_waitcnt vmcnt(52)
	v_mul_f32_e32 v21, v28, v153
	v_mul_f32_e32 v23, v27, v153
	v_fmac_f32_e32 v21, v27, v152
	s_waitcnt vmcnt(44)
	v_mul_f32_e32 v27, v43, v137
	v_fma_f32 v11, v24, v158, -v11
	v_fma_f32 v86, v22, v142, -v86
	v_mul_f32_e32 v22, v19, v155
	v_mul_f32_e32 v24, v44, v137
	ds_write_b64 v68, v[10:11] offset:2200
	v_mul_f32_e32 v10, v26, v157
	buffer_store_dword v154, off, s[20:23], 0 offset:340 ; 4-byte Folded Spill
	buffer_store_dword v155, off, s[20:23], 0 offset:344 ; 4-byte Folded Spill
	v_mul_f32_e32 v11, v25, v157
	v_fmac_f32_e32 v24, v43, v136
	v_fmac_f32_e32 v10, v25, v156
	buffer_store_dword v156, off, s[20:23], 0 offset:348 ; 4-byte Folded Spill
	buffer_store_dword v157, off, s[20:23], 0 offset:352 ; 4-byte Folded Spill
	buffer_store_dword v152, off, s[20:23], 0 offset:332 ; 4-byte Folded Spill
	buffer_store_dword v153, off, s[20:23], 0 offset:336 ; 4-byte Folded Spill
	v_mul_f32_e32 v25, v41, v135
	v_fma_f32 v19, v20, v154, -v22
	v_mul_f32_e32 v20, v30, v147
	v_fma_f32 v11, v26, v156, -v11
	v_fma_f32 v22, v28, v152, -v23
	ds_write_b64 v68, v[18:19] offset:4400
	ds_write_b64 v68, v[10:11] offset:6600
	v_mul_f32_e32 v10, v32, v145
	v_mul_f32_e32 v18, v34, v139
	;; [unrolled: 1-line block ×3, first 2 shown]
	ds_write_b64 v68, v[21:22] offset:8800
	v_fmac_f32_e32 v20, v29, v146
	v_mul_f32_e32 v19, v31, v145
	v_mul_f32_e32 v22, v33, v139
	buffer_store_dword v146, off, s[20:23], 0 offset:308 ; 4-byte Folded Spill
	buffer_store_dword v147, off, s[20:23], 0 offset:312 ; 4-byte Folded Spill
	v_fmac_f32_e32 v10, v31, v144
	buffer_store_dword v144, off, s[20:23], 0 offset:300 ; 4-byte Folded Spill
	buffer_store_dword v145, off, s[20:23], 0 offset:304 ; 4-byte Folded Spill
	v_fmac_f32_e32 v18, v33, v138
	buffer_store_dword v138, off, s[20:23], 0 offset:268 ; 4-byte Folded Spill
	buffer_store_dword v139, off, s[20:23], 0 offset:272 ; 4-byte Folded Spill
	v_mul_f32_e32 v23, v39, v141
	s_waitcnt vmcnt(43)
	v_mul_f32_e32 v26, v46, v130
	s_waitcnt vmcnt(42)
	v_mul_f32_e32 v28, v48, v107
	v_mul_f32_e32 v29, v47, v107
	s_waitcnt vmcnt(39)
	v_mul_f32_e32 v31, v49, v126
	s_waitcnt vmcnt(36)
	v_mul_f32_e32 v33, v51, v124
	v_fmac_f32_e32 v26, v45, v129
	v_fmac_f32_e32 v28, v47, v106
	v_fma_f32 v21, v30, v146, -v11
	v_mul_f32_e32 v30, v50, v126
	v_fma_f32 v11, v32, v144, -v19
	v_mul_f32_e32 v32, v52, v124
	v_fma_f32 v19, v34, v138, -v22
	ds_write_b64 v68, v[20:21] offset:11000
	v_mul_f32_e32 v20, v36, v149
	ds_write_b64 v68, v[10:11] offset:13200
	v_mul_f32_e32 v10, v38, v151
	ds_write2_b64 v68, v[85:86], v[18:19] offset1:55
	v_mul_f32_e32 v18, v40, v141
	v_mul_f32_e32 v22, v42, v135
	;; [unrolled: 1-line block ×3, first 2 shown]
	v_fmac_f32_e32 v20, v35, v148
	v_mul_f32_e32 v19, v37, v151
	buffer_store_dword v148, off, s[20:23], 0 offset:316 ; 4-byte Folded Spill
	buffer_store_dword v149, off, s[20:23], 0 offset:320 ; 4-byte Folded Spill
	v_fmac_f32_e32 v10, v37, v150
	buffer_store_dword v150, off, s[20:23], 0 offset:324 ; 4-byte Folded Spill
	buffer_store_dword v151, off, s[20:23], 0 offset:328 ; 4-byte Folded Spill
	v_fmac_f32_e32 v18, v39, v140
	;; [unrolled: 3-line block ×3, first 2 shown]
	buffer_store_dword v134, off, s[20:23], 0 offset:252 ; 4-byte Folded Spill
	buffer_store_dword v135, off, s[20:23], 0 offset:256 ; 4-byte Folded Spill
	;; [unrolled: 1-line block ×4, first 2 shown]
	v_fmac_f32_e32 v30, v49, v125
	s_waitcnt vmcnt(34)
	v_mul_f32_e32 v34, v54, v128
	v_mul_f32_e32 v35, v53, v128
	v_fmac_f32_e32 v32, v51, v123
	v_fmac_f32_e32 v34, v53, v127
	v_fma_f32 v21, v36, v148, -v11
	v_fma_f32 v11, v38, v150, -v19
	;; [unrolled: 1-line block ×5, first 2 shown]
	v_mul_f32_e32 v27, v45, v130
	buffer_store_dword v129, off, s[20:23], 0 offset:236 ; 4-byte Folded Spill
	buffer_store_dword v130, off, s[20:23], 0 offset:240 ; 4-byte Folded Spill
	;; [unrolled: 1-line block ×8, first 2 shown]
	v_fma_f32 v27, v46, v129, -v27
	v_fma_f32 v29, v48, v106, -v29
	v_fma_f32 v31, v50, v125, -v31
	v_fma_f32 v33, v52, v123, -v33
	ds_write2_b64 v7, v[20:21], v[30:31] offset0:74 offset1:129
	buffer_store_dword v127, off, s[20:23], 0 offset:228 ; 4-byte Folded Spill
	buffer_store_dword v128, off, s[20:23], 0 offset:232 ; 4-byte Folded Spill
	s_waitcnt vmcnt(32)
	v_mul_f32_e32 v20, v56, v133
	ds_write2_b64 v13, v[10:11], v[32:33] offset0:93 offset1:148
	v_mul_f32_e32 v11, v55, v133
	s_waitcnt vmcnt(30)
	v_mul_f32_e32 v10, v60, v122
	s_waitcnt vmcnt(26)
	v_mul_f32_e32 v30, v64, v120
	v_fmac_f32_e32 v20, v55, v132
	v_mul_f32_e32 v31, v61, v118
	v_mul_f32_e32 v32, v63, v120
	v_fmac_f32_e32 v10, v59, v121
	v_fmac_f32_e32 v30, v63, v119
	s_waitcnt vmcnt(2)
	v_mul_f32_e32 v33, v2, v95
	v_fma_f32 v35, v54, v127, -v35
	ds_write2_b64 v5, v[18:19], v[34:35] offset0:112 offset1:167
	buffer_store_dword v132, off, s[20:23], 0 offset:244 ; 4-byte Folded Spill
	buffer_store_dword v133, off, s[20:23], 0 offset:248 ; 4-byte Folded Spill
	v_mul_f32_e32 v18, v62, v118
	v_mul_f32_e32 v19, v59, v122
	buffer_store_dword v121, off, s[20:23], 0 offset:204 ; 4-byte Folded Spill
	buffer_store_dword v122, off, s[20:23], 0 offset:208 ; 4-byte Folded Spill
	s_waitcnt vmcnt(0)
	v_mul_f32_e32 v34, v0, v97
	v_fmac_f32_e32 v18, v61, v117
	buffer_store_dword v117, off, s[20:23], 0 offset:188 ; 4-byte Folded Spill
	buffer_store_dword v118, off, s[20:23], 0 offset:192 ; 4-byte Folded Spill
	v_fma_f32 v21, v56, v132, -v11
	v_fma_f32 v11, v60, v121, -v19
	ds_write2_b64 v6, v[22:23], v[20:21] offset0:131 offset1:186
	buffer_store_dword v119, off, s[20:23], 0 offset:196 ; 4-byte Folded Spill
	buffer_store_dword v120, off, s[20:23], 0 offset:200 ; 4-byte Folded Spill
	v_fma_f32 v19, v62, v117, -v31
	ds_write2_b64 v4, v[24:25], v[10:11] offset0:150 offset1:205
	ds_write2_b64 v16, v[26:27], v[18:19] offset0:169 offset1:224
	v_mul_f32_e32 v10, v58, v113
	v_mul_f32_e32 v18, v70, v115
	;; [unrolled: 1-line block ×7, first 2 shown]
	v_fmac_f32_e32 v10, v57, v112
	v_fmac_f32_e32 v18, v69, v114
	v_mul_f32_e32 v21, v71, v111
	v_fmac_f32_e32 v20, v71, v110
	v_mul_f32_e32 v23, v73, v105
	v_mul_f32_e32 v25, v65, v109
	v_fmac_f32_e32 v22, v73, v104
	v_fmac_f32_e32 v24, v65, v108
	v_mul_f32_e32 v27, v77, v103
	v_mul_f32_e32 v26, v76, v99
	v_fmac_f32_e32 v26, v75, v98
	v_fma_f32 v31, v64, v119, -v32
	v_mul_f32_e32 v32, v75, v99
	ds_write2_b64 v68, v[28:29], v[30:31] offset0:110 offset1:165
	v_mul_f32_e32 v28, v78, v103
	v_mul_f32_e32 v30, v80, v101
	buffer_store_dword v112, off, s[20:23], 0 offset:172 ; 4-byte Folded Spill
	buffer_store_dword v113, off, s[20:23], 0 offset:176 ; 4-byte Folded Spill
	;; [unrolled: 1-line block ×10, first 2 shown]
	v_mul_f32_e32 v31, v79, v101
	v_fmac_f32_e32 v28, v77, v102
	buffer_store_dword v102, off, s[20:23], 0 offset:132 ; 4-byte Folded Spill
	buffer_store_dword v103, off, s[20:23], 0 offset:136 ; 4-byte Folded Spill
	v_fmac_f32_e32 v30, v79, v100
	buffer_store_dword v100, off, s[20:23], 0 offset:124 ; 4-byte Folded Spill
	buffer_store_dword v101, off, s[20:23], 0 offset:128 ; 4-byte Folded Spill
	;; [unrolled: 1-line block ×4, first 2 shown]
	v_fma_f32 v11, v58, v112, -v11
	v_fma_f32 v19, v70, v114, -v19
	;; [unrolled: 1-line block ×5, first 2 shown]
                                        ; implicit-def: $vgpr112
	v_fma_f32 v29, v78, v102, -v27
	v_fma_f32 v31, v80, v100, -v31
	;; [unrolled: 1-line block ×3, first 2 shown]
	v_mul_f32_e32 v32, v1, v97
	ds_write_b64 v68, v[28:29] offset:1760
	v_mul_f32_e32 v28, v82, v91
	ds_write2_b64 v7, v[10:11], v[30:31] offset0:184 offset1:239
	v_mul_f32_e32 v30, v9, v89
	v_mul_f32_e32 v10, v84, v93
	;; [unrolled: 1-line block ×4, first 2 shown]
	v_fmac_f32_e32 v28, v81, v90
	v_fmac_f32_e32 v30, v8, v88
	v_mul_f32_e32 v8, v3, v95
	buffer_store_dword v90, off, s[20:23], 0 offset:84 ; 4-byte Folded Spill
	buffer_store_dword v91, off, s[20:23], 0 offset:88 ; 4-byte Folded Spill
	v_mul_f32_e32 v11, v83, v93
	v_fmac_f32_e32 v10, v83, v92
	buffer_store_dword v92, off, s[20:23], 0 offset:92 ; 4-byte Folded Spill
	buffer_store_dword v93, off, s[20:23], 0 offset:96 ; 4-byte Folded Spill
	;; [unrolled: 1-line block ×4, first 2 shown]
	v_fmac_f32_e32 v8, v2, v94
	buffer_store_dword v94, off, s[20:23], 0 offset:100 ; 4-byte Folded Spill
	buffer_store_dword v95, off, s[20:23], 0 offset:104 ; 4-byte Folded Spill
	v_fmac_f32_e32 v32, v0, v96
	buffer_store_dword v96, off, s[20:23], 0 offset:108 ; 4-byte Folded Spill
	buffer_store_dword v97, off, s[20:23], 0 offset:112 ; 4-byte Folded Spill
	v_fma_f32 v29, v82, v90, -v29
	v_fma_f32 v11, v84, v92, -v11
	;; [unrolled: 1-line block ×5, first 2 shown]
	ds_write2_b64 v14, v[18:19], v[28:29] offset0:75 offset1:130
	ds_write2_b64 v67, v[20:21], v[10:11] offset0:94 offset1:149
	;; [unrolled: 1-line block ×5, first 2 shown]
	s_waitcnt lgkmcnt(0)
	s_waitcnt_vscnt null, 0x0
	s_barrier
	buffer_gl0_inv
	ds_read2_b64 v[0:3], v15 offset0:92 offset1:147
	ds_read2_b64 v[8:11], v16 offset0:114 offset1:169
	buffer_store_dword v131, off, s[20:23], 0 ; 4-byte Folded Spill
	ds_read2_b64 v[18:21], v13 offset0:38 offset1:93
	ds_read2_b64 v[22:25], v4 offset0:40 offset1:95
	v_add_co_ci_u32_e64 v14, null, 0, 0, s0
	v_add_nc_u32_e32 v14, 0x3400, v68
	ds_read2_b64 v[26:29], v68 offset1:55
	ds_read2_b64 v[30:33], v5 offset0:2 offset1:57
	ds_read2_b64 v[34:37], v6 offset0:76 offset1:131
	;; [unrolled: 1-line block ×12, first 2 shown]
	ds_read_b64 v[66:67], v68 offset:14960
	s_waitcnt lgkmcnt(0)
	s_waitcnt_vscnt null, 0x0
	s_barrier
	buffer_gl0_inv
	v_add_f32_e32 v81, v2, v8
	v_add_f32_e32 v82, v3, v9
	v_sub_f32_e32 v2, v2, v8
	v_sub_f32_e32 v3, v3, v9
	v_add_f32_e32 v8, v18, v24
	v_add_f32_e32 v9, v19, v25
	v_sub_f32_e32 v18, v18, v24
	v_sub_f32_e32 v19, v19, v25
	;; [unrolled: 4-line block ×7, first 2 shown]
	v_sub_f32_e32 v81, v81, v24
	v_sub_f32_e32 v82, v82, v25
	;; [unrolled: 1-line block ×4, first 2 shown]
	v_add_f32_e32 v8, v32, v18
	v_add_f32_e32 v9, v33, v19
	v_sub_f32_e32 v87, v32, v18
	v_sub_f32_e32 v88, v33, v19
	;; [unrolled: 1-line block ×4, first 2 shown]
	v_add_f32_e32 v89, v38, v34
	v_add_f32_e32 v90, v39, v35
	v_sub_f32_e32 v32, v2, v32
	v_sub_f32_e32 v33, v3, v33
	;; [unrolled: 1-line block ×8, first 2 shown]
	v_add_f32_e32 v93, v36, v20
	v_add_f32_e32 v94, v37, v21
	v_sub_f32_e32 v95, v36, v20
	v_sub_f32_e32 v96, v37, v21
	;; [unrolled: 1-line block ×4, first 2 shown]
	v_add_f32_e32 v24, v24, v42
	v_add_f32_e32 v25, v25, v43
	v_mul_f32_e32 v42, 0x3f4a47b2, v81
	v_mul_f32_e32 v43, 0x3f4a47b2, v82
	;; [unrolled: 1-line block ×8, first 2 shown]
	v_add_f32_e32 v46, v46, v89
	v_add_f32_e32 v47, v47, v90
	v_sub_f32_e32 v36, v10, v36
	v_sub_f32_e32 v37, v11, v37
	v_add_f32_e32 v2, v8, v2
	v_add_f32_e32 v3, v9, v3
	;; [unrolled: 1-line block ×4, first 2 shown]
	v_mul_f32_e32 v34, 0x3f4a47b2, v34
	v_mul_f32_e32 v35, 0x3f4a47b2, v35
	v_mul_f32_e32 v93, 0x3d64c772, v38
	v_mul_f32_e32 v94, 0x3d64c772, v39
	v_mul_f32_e32 v95, 0xbf08b237, v95
	v_mul_f32_e32 v96, 0xbf08b237, v96
	v_mul_f32_e32 v99, 0x3f5ff5aa, v20
	v_mul_f32_e32 v100, 0x3f5ff5aa, v21
	v_add_f32_e32 v8, v26, v24
	v_add_f32_e32 v9, v27, v25
	v_fmamk_f32 v26, v85, 0x3d64c772, v42
	v_fmamk_f32 v27, v86, 0x3d64c772, v43
	v_fma_f32 v81, 0x3f3bfb3b, v83, -v81
	v_fma_f32 v82, 0x3f3bfb3b, v84, -v82
	;; [unrolled: 1-line block ×4, first 2 shown]
	v_fmamk_f32 v83, v32, 0x3eae86e6, v87
	v_fmamk_f32 v84, v33, 0x3eae86e6, v88
	v_fma_f32 v85, 0x3f5ff5aa, v18, -v87
	v_fma_f32 v86, 0x3f5ff5aa, v19, -v88
	;; [unrolled: 1-line block ×4, first 2 shown]
	v_add_f32_e32 v10, v28, v46
	v_add_f32_e32 v11, v29, v47
	v_fmamk_f32 v18, v38, 0x3d64c772, v34
	v_fmamk_f32 v19, v39, 0x3d64c772, v35
	v_fma_f32 v28, 0x3f3bfb3b, v91, -v93
	v_fma_f32 v29, 0x3f3bfb3b, v92, -v94
	;; [unrolled: 1-line block ×8, first 2 shown]
	v_fmamk_f32 v20, v24, 0xbf955555, v8
	v_fmamk_f32 v21, v25, 0xbf955555, v9
	v_fmac_f32_e32 v83, 0x3ee1c552, v2
	v_fmac_f32_e32 v84, 0x3ee1c552, v3
	;; [unrolled: 1-line block ×6, first 2 shown]
	v_fmamk_f32 v2, v46, 0xbf955555, v10
	v_fmamk_f32 v3, v47, 0xbf955555, v11
	;; [unrolled: 1-line block ×4, first 2 shown]
	v_fmac_f32_e32 v93, 0x3ee1c552, v89
	v_fmac_f32_e32 v94, 0x3ee1c552, v90
	v_add_f32_e32 v36, v26, v20
	v_add_f32_e32 v37, v27, v21
	v_add_f32_e32 v26, v81, v20
	v_add_f32_e32 v27, v82, v21
	v_add_f32_e32 v38, v42, v20
	v_add_f32_e32 v39, v43, v21
	v_add_f32_e32 v81, v18, v2
	v_add_f32_e32 v82, v19, v3
	v_add_f32_e32 v42, v28, v2
	v_add_f32_e32 v43, v29, v3
	v_add_f32_e32 v2, v34, v2
	v_add_f32_e32 v3, v35, v3
	v_add_f32_e32 v18, v36, v84
	v_sub_f32_e32 v19, v37, v83
	v_add_f32_e32 v20, v33, v38
	v_sub_f32_e32 v21, v39, v32
	v_sub_f32_e32 v28, v38, v33
	v_add_f32_e32 v29, v32, v39
	v_sub_f32_e32 v32, v36, v84
	v_add_f32_e32 v33, v83, v37
	v_add_f32_e32 v36, v94, v2
	v_sub_f32_e32 v37, v3, v93
	v_sub_f32_e32 v46, v2, v94
	v_add_f32_e32 v47, v93, v3
	v_add_f32_e32 v2, v40, v62
	;; [unrolled: 1-line block ×3, first 2 shown]
	v_sub_f32_e32 v40, v40, v62
	v_sub_f32_e32 v41, v41, v63
	v_add_f32_e32 v62, v54, v48
	v_add_f32_e32 v63, v55, v49
	v_fmac_f32_e32 v87, 0x3ee1c552, v89
	v_fmac_f32_e32 v88, 0x3ee1c552, v90
	v_sub_f32_e32 v48, v54, v48
	v_sub_f32_e32 v49, v55, v49
	v_add_f32_e32 v54, v44, v58
	v_add_f32_e32 v55, v45, v59
	v_sub_f32_e32 v44, v58, v44
	v_sub_f32_e32 v45, v59, v45
	v_add_f32_e32 v58, v62, v2
	v_add_f32_e32 v59, v63, v3
	v_sub_f32_e32 v24, v26, v86
	v_add_f32_e32 v25, v85, v27
	v_add_f32_e32 v26, v86, v26
	v_sub_f32_e32 v27, v27, v85
	v_add_f32_e32 v34, v81, v88
	v_sub_f32_e32 v35, v82, v87
	v_sub_f32_e32 v81, v81, v88
	v_add_f32_e32 v82, v87, v82
	v_sub_f32_e32 v83, v62, v2
	v_sub_f32_e32 v84, v63, v3
	;; [unrolled: 1-line block ×6, first 2 shown]
	v_add_f32_e32 v85, v44, v48
	v_add_f32_e32 v86, v45, v49
	v_sub_f32_e32 v87, v44, v48
	v_sub_f32_e32 v88, v45, v49
	;; [unrolled: 1-line block ×3, first 2 shown]
	v_add_f32_e32 v54, v54, v58
	v_add_f32_e32 v55, v55, v59
	v_sub_f32_e32 v49, v49, v41
	v_sub_f32_e32 v44, v40, v44
	v_sub_f32_e32 v45, v41, v45
	v_add_f32_e32 v58, v85, v40
	v_add_f32_e32 v59, v86, v41
	;; [unrolled: 1-line block ×4, first 2 shown]
	v_mul_f32_e32 v2, 0x3f4a47b2, v2
	v_mul_f32_e32 v3, 0x3f4a47b2, v3
	;; [unrolled: 1-line block ×8, first 2 shown]
	v_fmamk_f32 v54, v54, 0xbf955555, v40
	v_fmamk_f32 v55, v55, 0xbf955555, v41
	;; [unrolled: 1-line block ×4, first 2 shown]
	v_fma_f32 v2, 0xbf3bfb3b, v83, -v2
	v_fma_f32 v3, 0xbf3bfb3b, v84, -v3
	;; [unrolled: 1-line block ×6, first 2 shown]
	v_fmamk_f32 v83, v44, 0x3eae86e6, v85
	v_fmamk_f32 v84, v45, 0x3eae86e6, v86
	v_fma_f32 v85, 0x3f5ff5aa, v48, -v85
	v_fma_f32 v86, 0x3f5ff5aa, v49, -v86
	v_add_f32_e32 v2, v2, v54
	v_add_f32_e32 v3, v3, v55
	v_fmac_f32_e32 v88, 0x3ee1c552, v59
	v_fmac_f32_e32 v87, 0x3ee1c552, v58
	;; [unrolled: 1-line block ×6, first 2 shown]
	v_add_f32_e32 v48, v88, v2
	v_sub_f32_e32 v49, v3, v87
	v_sub_f32_e32 v58, v2, v88
	v_add_f32_e32 v59, v87, v3
	v_add_f32_e32 v2, v69, v64
	v_add_f32_e32 v3, v70, v65
	v_sub_f32_e32 v64, v69, v64
	v_sub_f32_e32 v65, v70, v65
	v_add_f32_e32 v69, v56, v77
	v_add_f32_e32 v70, v57, v78
	v_fmac_f32_e32 v91, 0x3ee1c552, v89
	v_fmac_f32_e32 v92, 0x3ee1c552, v90
	v_add_f32_e32 v62, v62, v54
	v_add_f32_e32 v63, v63, v55
	;; [unrolled: 1-line block ×4, first 2 shown]
	v_sub_f32_e32 v56, v56, v77
	v_sub_f32_e32 v57, v57, v78
	v_add_f32_e32 v77, v73, v60
	v_add_f32_e32 v78, v74, v61
	v_sub_f32_e32 v60, v60, v73
	v_sub_f32_e32 v61, v61, v74
	v_add_f32_e32 v73, v69, v2
	v_add_f32_e32 v74, v70, v3
	;; [unrolled: 1-line block ×3, first 2 shown]
	v_sub_f32_e32 v45, v63, v83
	v_sub_f32_e32 v50, v89, v86
	v_add_f32_e32 v51, v85, v90
	v_add_f32_e32 v54, v86, v89
	v_sub_f32_e32 v55, v90, v85
	v_sub_f32_e32 v62, v62, v84
	v_add_f32_e32 v63, v83, v63
	v_sub_f32_e32 v83, v69, v2
	v_sub_f32_e32 v84, v70, v3
	;; [unrolled: 1-line block ×4, first 2 shown]
	v_add_f32_e32 v85, v60, v56
	v_add_f32_e32 v86, v61, v57
	v_sub_f32_e32 v87, v60, v56
	v_sub_f32_e32 v88, v61, v57
	;; [unrolled: 1-line block ×3, first 2 shown]
	v_add_f32_e32 v73, v77, v73
	v_add_f32_e32 v74, v78, v74
	v_sub_f32_e32 v57, v57, v65
	v_sub_f32_e32 v69, v77, v69
	;; [unrolled: 1-line block ×5, first 2 shown]
	v_add_f32_e32 v64, v85, v64
	v_add_f32_e32 v65, v86, v65
	;; [unrolled: 1-line block ×4, first 2 shown]
	v_mul_f32_e32 v2, 0x3f4a47b2, v2
	v_mul_f32_e32 v3, 0x3f4a47b2, v3
	;; [unrolled: 1-line block ×8, first 2 shown]
	v_fmamk_f32 v73, v73, 0xbf955555, v52
	v_fmamk_f32 v74, v74, 0xbf955555, v53
	;; [unrolled: 1-line block ×4, first 2 shown]
	v_fma_f32 v2, 0xbf3bfb3b, v83, -v2
	v_fma_f32 v3, 0xbf3bfb3b, v84, -v3
	;; [unrolled: 1-line block ×6, first 2 shown]
	v_add_f32_e32 v2, v2, v73
	v_add_f32_e32 v3, v3, v74
	v_fmac_f32_e32 v88, 0x3ee1c552, v65
	v_fmac_f32_e32 v87, 0x3ee1c552, v64
	v_fmamk_f32 v83, v60, 0x3eae86e6, v85
	v_fmamk_f32 v84, v61, 0x3eae86e6, v86
	v_add_f32_e32 v89, v69, v73
	v_add_f32_e32 v90, v70, v74
	;; [unrolled: 1-line block ×5, first 2 shown]
	v_sub_f32_e32 v61, v3, v87
	v_sub_f32_e32 v73, v2, v88
	v_add_f32_e32 v74, v87, v3
	v_add_f32_e32 v2, v71, v66
	v_add_f32_e32 v3, v72, v67
	v_sub_f32_e32 v66, v71, v66
	v_sub_f32_e32 v67, v72, v67
	v_add_f32_e32 v71, v30, v79
	v_add_f32_e32 v72, v31, v80
	v_fma_f32 v85, 0x3f5ff5aa, v56, -v85
	v_fma_f32 v86, 0x3f5ff5aa, v57, -v86
	v_fmac_f32_e32 v83, 0x3ee1c552, v64
	v_fmac_f32_e32 v84, 0x3ee1c552, v65
	v_sub_f32_e32 v30, v30, v79
	v_sub_f32_e32 v31, v31, v80
	v_add_f32_e32 v79, v75, v22
	v_add_f32_e32 v80, v76, v23
	v_sub_f32_e32 v22, v22, v75
	v_sub_f32_e32 v23, v23, v76
	v_add_f32_e32 v75, v71, v2
	v_add_f32_e32 v76, v72, v3
	v_fmac_f32_e32 v85, 0x3ee1c552, v64
	v_fmac_f32_e32 v86, 0x3ee1c552, v65
	v_add_f32_e32 v56, v89, v84
	v_sub_f32_e32 v57, v90, v83
	v_sub_f32_e32 v77, v89, v84
	v_add_f32_e32 v78, v83, v90
	v_sub_f32_e32 v83, v71, v2
	v_sub_f32_e32 v84, v72, v3
	v_sub_f32_e32 v2, v2, v79
	v_sub_f32_e32 v3, v3, v80
	v_sub_f32_e32 v71, v79, v71
	v_sub_f32_e32 v72, v80, v72
	v_sub_f32_e32 v87, v22, v30
	v_sub_f32_e32 v88, v23, v31
	v_add_f32_e32 v75, v79, v75
	v_add_f32_e32 v76, v80, v76
	v_sub_f32_e32 v64, v69, v86
	v_add_f32_e32 v65, v85, v70
	v_add_f32_e32 v69, v86, v69
	v_sub_f32_e32 v70, v70, v85
	;; [unrolled: 3-line block ×3, first 2 shown]
	v_sub_f32_e32 v90, v67, v23
	v_sub_f32_e32 v30, v30, v66
	;; [unrolled: 1-line block ×3, first 2 shown]
	v_add_f32_e32 v22, v0, v75
	v_add_f32_e32 v23, v1, v76
	v_mul_f32_e32 v0, 0x3f4a47b2, v2
	v_mul_f32_e32 v1, 0x3f4a47b2, v3
	;; [unrolled: 1-line block ×6, first 2 shown]
	v_add_f32_e32 v66, v85, v66
	v_add_f32_e32 v67, v86, v67
	v_fmamk_f32 v75, v75, 0xbf955555, v22
	v_fmamk_f32 v76, v76, 0xbf955555, v23
	;; [unrolled: 1-line block ×4, first 2 shown]
	v_fma_f32 v2, 0x3f3bfb3b, v83, -v2
	v_fma_f32 v3, 0x3f3bfb3b, v84, -v3
	;; [unrolled: 1-line block ×4, first 2 shown]
	v_fmamk_f32 v83, v89, 0x3eae86e6, v79
	v_fmamk_f32 v84, v90, 0x3eae86e6, v80
	v_fma_f32 v79, 0x3f5ff5aa, v30, -v79
	v_fma_f32 v80, 0x3f5ff5aa, v31, -v80
	v_add_f32_e32 v2, v2, v75
	v_add_f32_e32 v3, v3, v76
	;; [unrolled: 1-line block ×3, first 2 shown]
	v_fmac_f32_e32 v79, 0x3ee1c552, v66
	v_fmac_f32_e32 v80, 0x3ee1c552, v67
	v_add_f32_e32 v88, v72, v76
	v_add_f32_e32 v0, v0, v75
	;; [unrolled: 1-line block ×4, first 2 shown]
	v_sub_f32_e32 v71, v2, v80
	v_add_f32_e32 v75, v80, v2
	v_sub_f32_e32 v76, v3, v79
	v_mul_lo_u16 v79, v12, 7
	v_mov_b32_e32 v80, 3
	v_mul_f32_e32 v85, 0x3f5ff5aa, v30
	v_mul_f32_e32 v86, 0x3f5ff5aa, v31
	v_sub_f32_e32 v38, v42, v92
	v_add_f32_e32 v39, v91, v43
	v_lshlrev_b32_sdwa v80, v80, v79 dst_sel:DWORD dst_unused:UNUSED_PAD src0_sel:DWORD src1_sel:WORD_0
	v_mul_u32_u24_e32 v79, 7, v213
	v_add_f32_e32 v42, v92, v42
	v_sub_f32_e32 v43, v43, v91
	v_fma_f32 v85, 0xbeae86e6, v89, -v85
	ds_write2_b64 v80, v[8:9], v[18:19] offset1:1
	v_mul_u32_u24_e32 v8, 7, v212
	v_lshlrev_b32_e32 v9, 3, v79
	ds_write2_b64 v80, v[20:21], v[24:25] offset0:2 offset1:3
	ds_write2_b64 v80, v[26:27], v[28:29] offset0:4 offset1:5
	buffer_store_dword v80, off, s[20:23], 0 offset:420 ; 4-byte Folded Spill
	ds_write_b64 v80, v[32:33] offset:48
	ds_write2_b64 v9, v[10:11], v[34:35] offset1:1
	v_lshlrev_b32_e32 v11, 3, v8
	v_fma_f32 v86, 0xbeae86e6, v90, -v86
	v_fmac_f32_e32 v83, 0x3ee1c552, v66
	v_fmac_f32_e32 v84, 0x3ee1c552, v67
	ds_write2_b64 v9, v[36:37], v[38:39] offset0:2 offset1:3
	v_mul_u32_u24_e32 v8, 7, v233
	ds_write2_b64 v9, v[42:43], v[46:47] offset0:4 offset1:5
	buffer_store_dword v9, off, s[20:23], 0 offset:384 ; 4-byte Folded Spill
	ds_write_b64 v9, v[81:82] offset:48
	ds_write2_b64 v11, v[40:41], v[44:45] offset1:1
	v_mul_u32_u24_e32 v9, 7, v234
	v_fmac_f32_e32 v86, 0x3ee1c552, v67
	v_fmac_f32_e32 v85, 0x3ee1c552, v66
	v_sub_f32_e32 v2, v87, v84
	v_add_f32_e32 v3, v83, v88
	v_lshlrev_b32_e32 v10, 3, v8
	v_lshlrev_b32_e32 v8, 3, v9
	v_add_f32_e32 v30, v87, v84
	v_sub_f32_e32 v31, v88, v83
	v_add_f32_e32 v66, v86, v0
	v_sub_f32_e32 v67, v1, v85
	v_sub_f32_e32 v0, v0, v86
	v_add_f32_e32 v1, v85, v1
	ds_write2_b64 v11, v[48:49], v[50:51] offset0:2 offset1:3
	ds_write2_b64 v11, v[54:55], v[58:59] offset0:4 offset1:5
	buffer_store_dword v11, off, s[20:23], 0 offset:380 ; 4-byte Folded Spill
	ds_write_b64 v11, v[62:63] offset:48
	ds_write2_b64 v10, v[52:53], v[56:57] offset1:1
	ds_write2_b64 v10, v[60:61], v[64:65] offset0:2 offset1:3
	ds_write2_b64 v10, v[69:70], v[73:74] offset0:4 offset1:5
	buffer_store_dword v10, off, s[20:23], 0 offset:376 ; 4-byte Folded Spill
	ds_write_b64 v10, v[77:78] offset:48
	ds_write2_b64 v8, v[22:23], v[30:31] offset1:1
	ds_write2_b64 v8, v[66:67], v[71:72] offset0:2 offset1:3
	ds_write2_b64 v8, v[75:76], v[0:1] offset0:4 offset1:5
	buffer_store_dword v8, off, s[20:23], 0 offset:372 ; 4-byte Folded Spill
	ds_write_b64 v8, v[2:3] offset:48
	v_add_nc_u32_e32 v8, 0xc00, v68
	s_waitcnt lgkmcnt(0)
	s_waitcnt_vscnt null, 0x0
	s_barrier
	buffer_gl0_inv
	ds_read2_b64 v[84:87], v68 offset1:55
	ds_read2_b64 v[80:83], v68 offset0:110 offset1:175
	ds_read2_b64 v[56:59], v7 offset0:94 offset1:149
	;; [unrolled: 1-line block ×4, first 2 shown]
	v_add_nc_u32_e32 v7, 0x2c00, v68
	ds_read2_b64 v[60:63], v5 offset0:42 offset1:107
	ds_read2_b64 v[40:43], v6 offset0:26 offset1:81
	;; [unrolled: 1-line block ×9, first 2 shown]
	ds_read2_b64 v[96:99], v4 offset1:55
	ds_read2_b64 v[4:7], v16 offset0:94 offset1:149
	ds_read_b64 v[114:115], v68 offset:14880
                                        ; kill: def $vgpr12 killed $sgpr0 killed $exec
                                        ; implicit-def: $vgpr92
                                        ; implicit-def: $vgpr88
                                        ; implicit-def: $vgpr18
                                        ; implicit-def: $vgpr14
	s_and_saveexec_b32 s0, vcc_lo
	s_cbranch_execz .LBB0_3
; %bb.2:
	v_add_nc_u32_e32 v18, 0x1a00, v68
	ds_read2_b64 v[0:3], v15 offset0:37 offset1:212
	ds_read2_b64 v[12:15], v13 offset0:3 offset1:178
	;; [unrolled: 1-line block ×4, first 2 shown]
	ds_read_b64 v[112:113], v68 offset:15320
	ds_read2_b64 v[16:19], v18 offset0:33 offset1:208
.LBB0_3:
	s_or_b32 exec_lo, exec_lo, s0
	buffer_load_dword v24, off, s[20:23], 0 ; 4-byte Folded Reload
	v_and_b32_e32 v21, 0xff, v213
	v_and_b32_e32 v117, 0xff, v212
	v_mul_lo_u16 v21, v21, 37
	v_lshrrev_b16 v21, 8, v21
	v_sub_nc_u16 v23, v213, v21
	v_lshrrev_b16 v23, 1, v23
	v_and_b32_e32 v23, 0x7f, v23
	v_add_nc_u16 v21, v23, v21
	v_lshrrev_b16 v27, 2, v21
	v_mul_lo_u16 v21, v27, 7
	v_sub_nc_u16 v21, v213, v21
	v_and_b32_e32 v71, 0xff, v21
	v_mul_u32_u24_e32 v21, 10, v71
	v_lshlrev_b32_e32 v21, 3, v21
	s_waitcnt vmcnt(0)
	v_and_b32_e32 v20, 0xff, v24
	v_mul_lo_u16 v20, v20, 37
	v_lshrrev_b16 v20, 8, v20
	v_sub_nc_u16 v22, v24, v20
	v_lshrrev_b16 v22, 1, v22
	v_and_b32_e32 v22, 0x7f, v22
	v_add_nc_u16 v20, v22, v20
	v_lshrrev_b16 v124, 2, v20
	v_mul_lo_u16 v20, v124, 7
	v_sub_nc_u16 v20, v24, v20
	v_and_b32_e32 v129, 0xff, v20
	v_mul_u32_u24_e32 v20, 10, v129
	v_lshlrev_b32_e32 v20, 3, v20
	s_clause 0x4
	global_load_dwordx4 v[140:143], v20, s[10:11]
	global_load_dwordx4 v[32:35], v21, s[10:11]
	global_load_dwordx4 v[130:133], v20, s[10:11] offset:16
	global_load_dwordx4 v[28:31], v21, s[10:11] offset:16
	global_load_dwordx4 v[36:39], v21, s[10:11] offset:32
	s_waitcnt vmcnt(4) lgkmcnt(14)
	v_mul_f32_e32 v22, v57, v143
	s_waitcnt vmcnt(3)
	v_mul_f32_e32 v23, v59, v35
	v_mul_f32_e32 v164, v56, v143
	;; [unrolled: 1-line block ×3, first 2 shown]
	s_waitcnt vmcnt(2) lgkmcnt(12)
	v_mul_f32_e32 v174, v44, v133
	v_fma_f32 v175, v56, v142, -v22
	v_fma_f32 v120, v58, v34, -v23
	v_mul_f32_e32 v22, v45, v133
	s_waitcnt vmcnt(1)
	v_mul_f32_e32 v23, v47, v31
	v_fmac_f32_e32 v164, v57, v142
	v_fmac_f32_e32 v118, v59, v34
	v_mul_f32_e32 v119, v46, v31
	v_fma_f32 v180, v44, v132, -v22
	v_fma_f32 v121, v46, v30, -v23
	s_clause 0x1
	global_load_dwordx4 v[22:25], v20, s[10:11] offset:32
	global_load_dwordx4 v[56:59], v20, s[10:11] offset:48
	s_waitcnt vmcnt(2) lgkmcnt(10)
	v_mul_f32_e32 v122, v42, v39
	v_fmac_f32_e32 v174, v45, v132
	v_fmac_f32_e32 v119, v47, v30
	s_waitcnt lgkmcnt(5)
	v_mul_f32_e32 v139, v108, v33
	v_mul_f32_e32 v197, v66, v131
	v_fmac_f32_e32 v122, v43, v38
	s_waitcnt vmcnt(1)
	v_mul_f32_e32 v26, v41, v25
	v_mul_f32_e32 v178, v40, v25
	s_waitcnt vmcnt(0)
	v_mul_f32_e32 v187, v52, v59
	v_mul_f32_e32 v199, v62, v23
	;; [unrolled: 1-line block ×3, first 2 shown]
	v_fma_f32 v179, v40, v24, -v26
	v_mul_f32_e32 v26, v43, v39
	v_fmac_f32_e32 v178, v41, v24
	v_fmac_f32_e32 v187, v53, v58
	;; [unrolled: 1-line block ×4, first 2 shown]
	v_fma_f32 v123, v42, v38, -v26
	s_clause 0x2
	global_load_dwordx4 v[44:47], v21, s[10:11] offset:48
	global_load_dwordx4 v[40:43], v21, s[10:11] offset:64
	;; [unrolled: 1-line block ×3, first 2 shown]
	v_mul_f32_e32 v26, v53, v59
	v_sub_f32_e32 v209, v174, v203
	v_sub_f32_e32 v214, v199, v178
	v_fma_f32 v188, v52, v58, -v26
	v_mul_f32_e32 v215, 0x3f68dda4, v214
	s_waitcnt vmcnt(2)
	v_mul_f32_e32 v21, v55, v47
	v_mul_f32_e32 v125, v54, v47
	s_waitcnt vmcnt(0)
	v_mul_f32_e32 v20, v49, v79
	v_mul_f32_e32 v194, v48, v79
	;; [unrolled: 1-line block ×3, first 2 shown]
	v_fma_f32 v126, v54, v46, -v21
	v_fmac_f32_e32 v125, v55, v46
	v_fma_f32 v193, v48, v78, -v20
	v_mul_f32_e32 v20, v51, v43
	v_fmac_f32_e32 v194, v49, v78
	v_fmac_f32_e32 v128, v51, v42
	s_waitcnt lgkmcnt(2)
	v_mul_f32_e32 v134, v96, v45
	v_mul_f32_e32 v205, v10, v77
	v_fma_f32 v127, v50, v42, -v20
	v_mul_lo_u16 v20, v117, 37
	s_waitcnt lgkmcnt(1)
	v_mul_f32_e32 v136, v4, v41
	v_fmac_f32_e32 v134, v97, v44
	v_fmac_f32_e32 v205, v11, v76
	v_lshrrev_b16 v20, 8, v20
	v_fmac_f32_e32 v136, v5, v40
	v_sub_f32_e32 v211, v164, v205
	v_sub_nc_u16 v21, v212, v20
	v_lshrrev_b16 v21, 1, v21
	v_and_b32_e32 v21, 0x7f, v21
	v_add_nc_u16 v20, v21, v20
	v_mul_f32_e32 v21, v109, v33
	v_lshrrev_b16 v69, 2, v20
	v_fma_f32 v138, v108, v32, -v21
	buffer_store_dword v32, off, s[20:23], 0 offset:404 ; 4-byte Folded Spill
	buffer_store_dword v33, off, s[20:23], 0 offset:408 ; 4-byte Folded Spill
	;; [unrolled: 1-line block ×4, first 2 shown]
	v_mul_lo_u16 v20, v69, 7
	v_sub_nc_u16 v20, v212, v20
	v_and_b32_e32 v70, 0xff, v20
	v_mul_u32_u24_e32 v20, 10, v70
	v_lshlrev_b32_e32 v20, 3, v20
	s_clause 0x1
	global_load_dwordx4 v[52:55], v20, s[10:11]
	global_load_dwordx4 v[48:51], v20, s[10:11] offset:16
	v_fmac_f32_e32 v139, v109, v32
	v_add_f32_e32 v151, v139, v128
	v_add_f32_e32 v152, v87, v139
	s_waitcnt vmcnt(1)
	v_mul_f32_e32 v21, v111, v53
	v_mul_f32_e32 v108, v64, v55
	;; [unrolled: 1-line block ×3, first 2 shown]
	v_fma_f32 v155, v110, v52, -v21
	v_mul_f32_e32 v21, v67, v131
	v_fmac_f32_e32 v108, v65, v54
	v_fmac_f32_e32 v156, v111, v52
	v_add_f32_e32 v201, v80, v155
	v_fma_f32 v198, v66, v130, -v21
	buffer_store_dword v130, off, s[20:23], 0 offset:440 ; 4-byte Folded Spill
	buffer_store_dword v131, off, s[20:23], 0 offset:444 ; 4-byte Folded Spill
	;; [unrolled: 1-line block ×4, first 2 shown]
	v_mul_f32_e32 v21, v65, v55
	v_mul_f32_e32 v132, v100, v37
	v_add_f32_e32 v202, v81, v156
	v_fma_f32 v109, v64, v54, -v21
	v_mul_f32_e32 v21, v105, v29
	v_fma_f32 v131, v104, v28, -v21
	s_waitcnt vmcnt(0)
	v_mul_f32_e32 v21, v107, v49
	v_fmac_f32_e32 v197, v67, v130
	v_mul_f32_e32 v130, v104, v29
	buffer_store_dword v28, off, s[20:23], 0 offset:388 ; 4-byte Folded Spill
	buffer_store_dword v29, off, s[20:23], 0 offset:392 ; 4-byte Folded Spill
	;; [unrolled: 1-line block ×4, first 2 shown]
	v_mul_f32_e32 v104, v106, v49
	v_sub_f32_e32 v210, v197, v187
	v_fmac_f32_e32 v104, v107, v48
	v_fmac_f32_e32 v130, v105, v28
	v_fma_f32 v105, v106, v48, -v21
	v_mul_f32_e32 v21, v63, v23
	v_mul_f32_e32 v106, v60, v51
	v_fma_f32 v200, v62, v22, -v21
	v_mul_f32_e32 v21, v61, v51
	v_fmac_f32_e32 v106, v61, v50
	v_fma_f32 v107, v60, v50, -v21
	v_mul_f32_e32 v21, v101, v37
	v_fma_f32 v133, v100, v36, -v21
	buffer_store_dword v36, off, s[20:23], 0 offset:424 ; 4-byte Folded Spill
	buffer_store_dword v37, off, s[20:23], 0 offset:428 ; 4-byte Folded Spill
	;; [unrolled: 1-line block ×4, first 2 shown]
	s_clause 0x1
	global_load_dwordx4 v[64:67], v20, s[10:11] offset:32
	global_load_dwordx4 v[60:63], v20, s[10:11] offset:48
	v_fmac_f32_e32 v132, v101, v36
	s_waitcnt vmcnt(1)
	v_mul_f32_e32 v21, v103, v65
	v_mul_f32_e32 v100, v102, v65
	v_fma_f32 v101, v102, v64, -v21
	v_mul_f32_e32 v21, v75, v57
	v_fmac_f32_e32 v100, v103, v64
	v_mul_f32_e32 v102, v72, v67
	v_fma_f32 v204, v74, v56, -v21
	v_mul_f32_e32 v21, v73, v67
	v_fmac_f32_e32 v102, v73, v66
	v_fma_f32 v103, v72, v66, -v21
	v_mul_f32_e32 v21, v97, v45
	v_fma_f32 v135, v96, v44, -v21
	s_waitcnt vmcnt(0)
	v_mul_f32_e32 v21, v99, v61
	v_mul_f32_e32 v96, v98, v61
	v_fma_f32 v97, v98, v60, -v21
	v_mul_f32_e32 v21, v11, v77
	v_fmac_f32_e32 v96, v99, v60
	v_mul_f32_e32 v98, v8, v63
	v_fma_f32 v206, v10, v76, -v21
	v_mul_f32_e32 v10, v9, v63
	v_fmac_f32_e32 v98, v9, v62
	v_sub_f32_e32 v208, v175, v206
	v_fma_f32 v99, v8, v62, -v10
	v_and_b32_e32 v8, 0xff, v233
	v_mul_lo_u16 v9, v8, 37
	v_lshrrev_b16 v9, 8, v9
	v_sub_nc_u16 v10, v233, v9
	v_lshrrev_b16 v10, 1, v10
	v_and_b32_e32 v10, 0x7f, v10
	v_add_nc_u16 v9, v10, v9
	v_lshrrev_b16 v9, 2, v9
	buffer_store_dword v9, off, s[20:23], 0 offset:368 ; 4-byte Folded Spill
	v_mul_lo_u16 v9, v9, 7
	v_sub_nc_u16 v9, v233, v9
	v_and_b32_e32 v9, 0xff, v9
	buffer_store_dword v9, off, s[20:23], 0 offset:364 ; 4-byte Folded Spill
	v_mul_u32_u24_e32 v9, 10, v9
	v_lshlrev_b32_e32 v21, 3, v9
	s_clause 0x1
	global_load_dwordx4 v[72:75], v20, s[10:11] offset:64
	global_load_dwordx4 v[28:31], v21, s[10:11]
	v_mul_f32_e32 v9, v5, v41
	v_fma_f32 v137, v4, v40, -v9
	s_waitcnt vmcnt(1)
	v_mul_f32_e32 v4, v7, v73
	v_mul_f32_e32 v110, v6, v73
	s_waitcnt vmcnt(0)
	v_mul_f32_e32 v26, v2, v29
	v_mul_f32_e32 v9, v12, v31
	v_fma_f32 v111, v6, v72, -v4
	v_mul_f32_e32 v4, v3, v29
	v_fmac_f32_e32 v110, v7, v72
	v_fmac_f32_e32 v26, v3, v28
	v_mul_f32_e32 v3, v83, v141
	v_fma_f32 v6, v2, v28, -v4
	v_mul_f32_e32 v2, v13, v31
	v_fma_f32 v7, v12, v30, -v2
	buffer_store_dword v28, off, s[20:23], 0 offset:540 ; 4-byte Folded Spill
	buffer_store_dword v29, off, s[20:23], 0 offset:544 ; 4-byte Folded Spill
	;; [unrolled: 1-line block ×4, first 2 shown]
	v_fmac_f32_e32 v9, v13, v30
	s_clause 0x1
	global_load_dwordx4 v[32:35], v21, s[10:11] offset:16
	global_load_dwordx4 v[28:31], v21, s[10:11] offset:32
	s_waitcnt vmcnt(1)
	v_mul_f32_e32 v2, v15, v33
	v_mul_f32_e32 v12, v14, v33
	s_waitcnt lgkmcnt(0)
	v_mul_f32_e32 v13, v16, v35
	v_fma_f32 v10, v14, v32, -v2
	v_mul_f32_e32 v2, v17, v35
	v_fmac_f32_e32 v12, v15, v32
	v_fma_f32 v11, v16, v34, -v2
	buffer_store_dword v32, off, s[20:23], 0 offset:524 ; 4-byte Folded Spill
	buffer_store_dword v33, off, s[20:23], 0 offset:528 ; 4-byte Folded Spill
	;; [unrolled: 1-line block ×4, first 2 shown]
	s_waitcnt vmcnt(0)
	v_mul_f32_e32 v2, v19, v29
	v_mul_f32_e32 v16, v18, v29
	v_fma_f32 v14, v18, v28, -v2
	v_mul_f32_e32 v2, v93, v31
	v_fmac_f32_e32 v16, v19, v28
	v_fma_f32 v15, v92, v30, -v2
	v_fmac_f32_e32 v13, v17, v34
	v_mul_f32_e32 v17, v92, v31
	buffer_store_dword v28, off, s[20:23], 0 offset:508 ; 4-byte Folded Spill
	buffer_store_dword v29, off, s[20:23], 0 offset:512 ; 4-byte Folded Spill
	;; [unrolled: 1-line block ×4, first 2 shown]
	v_fmac_f32_e32 v17, v93, v30
	s_clause 0x1
	global_load_dwordx4 v[28:31], v21, s[10:11] offset:48
	global_load_dwordx4 v[217:220], v21, s[10:11] offset:64
	s_waitcnt vmcnt(1)
	v_mul_f32_e32 v2, v95, v29
	v_mul_f32_e32 v92, v94, v29
	;; [unrolled: 1-line block ×3, first 2 shown]
	v_fma_f32 v18, v94, v28, -v2
	v_mul_f32_e32 v2, v89, v31
	v_fmac_f32_e32 v92, v95, v28
	s_waitcnt vmcnt(0)
	v_mul_f32_e32 v95, v90, v218
	v_fma_f32 v19, v88, v30, -v2
	v_mul_f32_e32 v2, v91, v218
	buffer_store_dword v28, off, s[20:23], 0 offset:556 ; 4-byte Folded Spill
	buffer_store_dword v29, off, s[20:23], 0 offset:560 ; 4-byte Folded Spill
	;; [unrolled: 1-line block ×4, first 2 shown]
	v_fmac_f32_e32 v95, v91, v217
	v_fma_f32 v94, v90, v217, -v2
	v_mul_f32_e32 v2, v82, v141
	v_fmac_f32_e32 v2, v83, v140
	buffer_store_dword v140, off, s[20:23], 0 offset:456 ; 4-byte Folded Spill
	buffer_store_dword v141, off, s[20:23], 0 offset:460 ; 4-byte Folded Spill
	;; [unrolled: 1-line block ×4, first 2 shown]
	s_waitcnt_vscnt null, 0x0
	s_barrier
	buffer_gl0_inv
	v_sub_f32_e32 v4, v2, v194
	v_mul_f32_e32 v90, 0xbf0a6770, v4
	v_mul_f32_e32 v88, 0xbf7d64f0, v4
	;; [unrolled: 1-line block ×3, first 2 shown]
	v_fmac_f32_e32 v93, v89, v30
	v_mul_f32_e32 v89, 0xbf68dda4, v4
	v_add_f32_e32 v30, v2, v194
	v_add_f32_e32 v2, v85, v2
	;; [unrolled: 1-line block ×3, first 2 shown]
	v_fma_f32 v3, v82, v140, -v3
	v_mul_f32_e32 v82, 0xbe903f40, v4
	v_add_f32_e32 v2, v2, v197
	v_add_f32_e32 v5, v3, v193
	;; [unrolled: 1-line block ×3, first 2 shown]
	v_fma_f32 v4, 0x3f575c64, v5, -v90
	v_fmac_f32_e32 v90, 0x3f575c64, v5
	v_fma_f32 v91, 0x3ed4b147, v5, -v89
	v_fmac_f32_e32 v89, 0x3ed4b147, v5
	;; [unrolled: 2-line block ×5, first 2 shown]
	v_sub_f32_e32 v5, v3, v193
	v_add_f32_e32 v3, v84, v3
	v_add_f32_e32 v192, v84, v91
	;; [unrolled: 1-line block ×4, first 2 shown]
	v_mul_f32_e32 v20, 0xbf0a6770, v5
	v_mul_f32_e32 v21, 0xbf68dda4, v5
	;; [unrolled: 1-line block ×5, first 2 shown]
	v_fmamk_f32 v153, v30, 0x3f575c64, v20
	v_fma_f32 v150, 0x3f575c64, v30, -v20
	v_fmamk_f32 v149, v30, 0x3ed4b147, v21
	v_fma_f32 v148, 0x3ed4b147, v30, -v21
	;; [unrolled: 2-line block ×3, first 2 shown]
	v_sub_f32_e32 v5, v139, v128
	v_fmamk_f32 v147, v30, 0xbe11bafb, v28
	v_fma_f32 v146, 0xbe11bafb, v30, -v28
	v_fmamk_f32 v145, v30, 0xbf27a4f4, v29
	v_fma_f32 v144, 0xbf27a4f4, v30, -v29
	v_mul_f32_e32 v20, 0xbf0a6770, v5
	v_mul_f32_e32 v21, 0xbf68dda4, v5
	;; [unrolled: 1-line block ×5, first 2 shown]
	v_add_f32_e32 v5, v138, v127
	v_add_f32_e32 v3, v3, v175
	;; [unrolled: 1-line block ×5, first 2 shown]
	v_fma_f32 v31, 0x3f575c64, v5, -v20
	v_fmac_f32_e32 v20, 0x3f575c64, v5
	v_fma_f32 v32, 0x3ed4b147, v5, -v21
	v_fmac_f32_e32 v21, 0x3ed4b147, v5
	;; [unrolled: 2-line block ×5, first 2 shown]
	v_sub_f32_e32 v5, v138, v127
	v_add_f32_e32 v177, v84, v142
	v_add_f32_e32 v167, v84, v82
	;; [unrolled: 1-line block ×4, first 2 shown]
	v_mul_f32_e32 v36, 0xbf0a6770, v5
	v_mul_f32_e32 v37, 0xbf68dda4, v5
	;; [unrolled: 1-line block ×6, first 2 shown]
	v_add_f32_e32 v3, v3, v180
	v_add_f32_e32 v154, v85, v150
	;; [unrolled: 1-line block ×3, first 2 shown]
	v_fmamk_f32 v171, v151, 0xbf75a155, v5
	v_fma_f32 v172, 0xbf75a155, v151, -v5
	v_add_f32_e32 v5, v84, v4
	v_add_f32_e32 v4, v85, v153
	;; [unrolled: 1-line block ×3, first 2 shown]
	v_mul_f32_e32 v84, v114, v75
	v_add_f32_e32 v160, v85, v148
	v_add_f32_e32 v189, v85, v147
	;; [unrolled: 1-line block ×4, first 2 shown]
	v_fmac_f32_e32 v84, v115, v74
	v_add_f32_e32 v168, v85, v144
	v_add_f32_e32 v176, v85, v143
	;; [unrolled: 1-line block ×3, first 2 shown]
	v_fma_f32 v85, v114, v74, -v20
	v_sub_f32_e32 v20, v156, v84
	v_add_f32_e32 v3, v3, v200
	v_fmamk_f32 v162, v151, 0x3f575c64, v36
	v_fma_f32 v36, 0x3f575c64, v151, -v36
	v_add_f32_e32 v150, v86, v31
	v_add_f32_e32 v91, v86, v21
	;; [unrolled: 1-line block ×5, first 2 shown]
	v_mul_f32_e32 v21, 0xbf0a6770, v20
	v_mul_f32_e32 v28, 0xbf68dda4, v20
	;; [unrolled: 1-line block ×5, first 2 shown]
	v_add_f32_e32 v31, v155, v85
	v_add_f32_e32 v2, v2, v199
	;; [unrolled: 1-line block ×3, first 2 shown]
	v_fmamk_f32 v163, v151, 0x3ed4b147, v37
	v_fma_f32 v37, 0x3ed4b147, v151, -v37
	v_fmamk_f32 v165, v151, 0xbe11bafb, v38
	v_fma_f32 v38, 0xbe11bafb, v151, -v38
	;; [unrolled: 2-line block ×3, first 2 shown]
	v_add_f32_e32 v83, v87, v36
	v_add_f32_e32 v148, v86, v32
	;; [unrolled: 1-line block ×5, first 2 shown]
	v_fma_f32 v32, 0x3f575c64, v31, -v21
	v_fmac_f32_e32 v21, 0x3f575c64, v31
	v_fma_f32 v33, 0x3ed4b147, v31, -v28
	v_fmac_f32_e32 v28, 0x3ed4b147, v31
	;; [unrolled: 2-line block ×5, first 2 shown]
	v_sub_f32_e32 v31, v155, v85
	v_add_f32_e32 v2, v2, v178
	v_add_f32_e32 v3, v3, v204
	;; [unrolled: 1-line block ×12, first 2 shown]
	v_mul_f32_e32 v37, 0xbf0a6770, v31
	v_mul_f32_e32 v38, 0xbf68dda4, v31
	;; [unrolled: 1-line block ×5, first 2 shown]
	v_add_f32_e32 v114, v156, v84
	v_add_f32_e32 v2, v2, v203
	;; [unrolled: 1-line block ×5, first 2 shown]
	v_fmamk_f32 v115, v114, 0x3f575c64, v37
	v_fma_f32 v37, 0x3f575c64, v114, -v37
	v_fmamk_f32 v162, v114, 0x3ed4b147, v38
	v_fma_f32 v38, 0x3ed4b147, v114, -v38
	;; [unrolled: 2-line block ×5, first 2 shown]
	v_add_f32_e32 v2, v2, v187
	v_add_f32_e32 v3, v3, v206
	;; [unrolled: 1-line block ×24, first 2 shown]
	v_sub_f32_e32 v207, v198, v188
	v_add_f32_e32 v188, v197, v187
	v_add_f32_e32 v187, v180, v204
	v_sub_f32_e32 v206, v180, v204
	v_add_f32_e32 v180, v174, v203
	v_mul_f32_e32 v174, 0xbf68dda4, v211
	v_add_f32_e32 v3, v20, v194
	v_add_f32_e32 v175, v164, v205
	v_mul_f32_e32 v197, 0xbf68dda4, v208
	v_mul_f32_e32 v194, 0xbf7d64f0, v210
	v_fma_f32 v20, 0x3ed4b147, v81, -v174
	v_mul_f32_e32 v203, 0xbf7d64f0, v207
	v_mul_f32_e32 v198, 0xbf4178ce, v209
	;; [unrolled: 1-line block ×3, first 2 shown]
	v_add_f32_e32 v204, v200, v179
	v_add_f32_e32 v5, v20, v5
	v_fmamk_f32 v20, v175, 0x3ed4b147, v197
	v_sub_f32_e32 v200, v200, v179
	v_mul_f32_e32 v179, 0xbe903f40, v214
	v_add_f32_e32 v178, v199, v178
	v_mov_b32_e32 v164, 0x4d
	v_add_f32_e32 v4, v20, v4
	v_fma_f32 v20, 0xbe11bafb, v193, -v194
	v_mul_f32_e32 v199, 0xbe903f40, v200
	v_mul_f32_e32 v21, 0xbf4178ce, v208
	v_mul_f32_e32 v28, 0x3e903f40, v210
	v_mul_f32_e32 v29, 0x3e903f40, v207
	v_add_f32_e32 v5, v20, v5
	v_fmamk_f32 v20, v188, 0xbe11bafb, v203
	v_mul_f32_e32 v30, 0x3f7d64f0, v209
	v_mul_f32_e32 v31, 0x3f7d64f0, v206
	;; [unrolled: 1-line block ×4, first 2 shown]
	v_add_f32_e32 v4, v20, v4
	v_fma_f32 v20, 0xbf27a4f4, v187, -v198
	v_mul_f32_e32 v34, 0x3e903f40, v211
	v_mul_f32_e32 v36, 0x3f68dda4, v210
	;; [unrolled: 1-line block ×4, first 2 shown]
	v_add_f32_e32 v5, v20, v5
	v_fmamk_f32 v20, v180, 0xbf27a4f4, v205
	v_fma_f32 v37, 0x3ed4b147, v193, -v36
	v_fmac_f32_e32 v36, 0x3ed4b147, v193
	v_fmac_f32_e32 v174, 0x3ed4b147, v81
	;; [unrolled: 1-line block ×3, first 2 shown]
	v_add_f32_e32 v20, v20, v4
	v_fma_f32 v4, 0xbf75a155, v204, -v179
	v_fmac_f32_e32 v198, 0xbf27a4f4, v187
	v_fmac_f32_e32 v179, 0xbf75a155, v204
	v_add_f32_e32 v4, v4, v5
	v_fmamk_f32 v5, v178, 0xbf75a155, v199
	v_add_f32_e32 v5, v5, v20
	v_mul_u32_u24_sdwa v20, v124, v164 dst_sel:DWORD dst_unused:UNUSED_PAD src0_sel:WORD_0 src1_sel:DWORD
	v_add_lshl_u32 v221, v20, v129, 3
	v_mul_f32_e32 v20, 0xbf4178ce, v211
	ds_write2_b64 v221, v[2:3], v[4:5] offset1:7
	v_fma_f32 v2, 0xbf27a4f4, v81, -v20
	v_fmamk_f32 v3, v175, 0xbf27a4f4, v21
	v_fma_f32 v4, 0xbf75a155, v193, -v28
	v_fmamk_f32 v5, v175, 0xbf75a155, v35
	v_fmac_f32_e32 v20, 0xbf27a4f4, v81
	v_add_f32_e32 v2, v2, v192
	v_add_f32_e32 v3, v3, v191
	v_mul_f32_e32 v191, 0xbe903f40, v209
	v_add_f32_e32 v5, v5, v189
	v_mul_f32_e32 v192, 0xbe903f40, v206
	v_add_f32_e32 v2, v4, v2
	v_fmamk_f32 v4, v188, 0xbf75a155, v29
	v_fmac_f32_e32 v28, 0xbf75a155, v193
	buffer_store_dword v221, off, s[20:23], 0 offset:472 ; 4-byte Folded Spill
	v_add_f32_e32 v3, v4, v3
	v_fma_f32 v4, 0xbe11bafb, v187, -v30
	v_fmac_f32_e32 v30, 0xbe11bafb, v187
	v_add_f32_e32 v2, v4, v2
	v_fmamk_f32 v4, v180, 0xbe11bafb, v31
	v_add_f32_e32 v3, v4, v3
	v_fma_f32 v4, 0x3f575c64, v204, -v32
	v_fmac_f32_e32 v32, 0x3f575c64, v204
	v_add_f32_e32 v2, v4, v2
	v_fmamk_f32 v4, v178, 0x3f575c64, v33
	v_add_f32_e32 v3, v4, v3
	v_fma_f32 v4, 0xbf75a155, v81, -v34
	v_fmac_f32_e32 v34, 0xbf75a155, v81
	v_add_f32_e32 v4, v4, v190
	v_mul_f32_e32 v190, 0xbf0a6770, v207
	v_add_f32_e32 v4, v37, v4
	v_mul_f32_e32 v37, 0x3f68dda4, v207
	v_mul_f32_e32 v207, 0xbf4178ce, v207
	v_fmamk_f32 v38, v188, 0x3ed4b147, v37
	v_add_f32_e32 v5, v38, v5
	v_mul_f32_e32 v38, 0xbf0a6770, v209
	v_fma_f32 v39, 0x3f575c64, v187, -v38
	v_fmac_f32_e32 v38, 0x3f575c64, v187
	v_add_f32_e32 v4, v39, v4
	v_mul_f32_e32 v39, 0xbf0a6770, v206
	v_mul_f32_e32 v206, 0x3f68dda4, v206
	v_fmamk_f32 v124, v180, 0x3f575c64, v39
	v_add_f32_e32 v5, v124, v5
	v_mul_f32_e32 v124, 0xbf4178ce, v214
	v_fma_f32 v129, 0xbf27a4f4, v204, -v124
	v_fmac_f32_e32 v124, 0xbf27a4f4, v204
	v_add_f32_e32 v4, v129, v4
	v_mul_f32_e32 v129, 0xbf4178ce, v200
	v_mul_f32_e32 v200, 0xbf7d64f0, v200
	v_fmamk_f32 v189, v178, 0xbf27a4f4, v129
	v_add_f32_e32 v5, v189, v5
	v_mul_f32_e32 v189, 0x3f7d64f0, v211
	v_mul_f32_e32 v211, 0x3f0a6770, v211
	ds_write2_b64 v221, v[2:3], v[4:5] offset0:14 offset1:21
	v_fma_f32 v2, 0xbe11bafb, v81, -v189
	v_fmac_f32_e32 v189, 0xbe11bafb, v81
	v_add_f32_e32 v2, v2, v182
	v_mul_f32_e32 v182, 0x3f7d64f0, v208
	v_fmamk_f32 v3, v175, 0xbe11bafb, v182
	v_add_f32_e32 v3, v3, v181
	v_mul_f32_e32 v181, 0xbf0a6770, v210
	v_fma_f32 v4, 0x3f575c64, v193, -v181
	v_fmac_f32_e32 v181, 0x3f575c64, v193
	v_add_f32_e32 v2, v4, v2
	v_fmamk_f32 v4, v188, 0x3f575c64, v190
	v_add_f32_e32 v3, v4, v3
	v_fma_f32 v4, 0xbf75a155, v187, -v191
	v_fmac_f32_e32 v191, 0xbf75a155, v187
	v_add_f32_e32 v2, v4, v2
	v_fmamk_f32 v4, v180, 0xbf75a155, v192
	v_add_f32_e32 v3, v4, v3
	;; [unrolled: 5-line block ×3, first 2 shown]
	v_fma_f32 v4, 0x3f575c64, v81, -v211
	v_fmac_f32_e32 v211, 0x3f575c64, v81
	v_add_f32_e32 v4, v4, v177
	v_mul_f32_e32 v177, 0x3f0a6770, v208
	v_fmamk_f32 v5, v175, 0x3f575c64, v177
	v_add_f32_e32 v5, v5, v176
	v_mul_f32_e32 v176, 0xbf4178ce, v210
	v_fma_f32 v208, 0xbf27a4f4, v193, -v176
	v_fmac_f32_e32 v176, 0xbf27a4f4, v193
	v_add_f32_e32 v4, v208, v4
	v_fmamk_f32 v208, v188, 0xbf27a4f4, v207
	v_add_f32_e32 v5, v208, v5
	v_mul_f32_e32 v208, 0x3f68dda4, v209
	v_fma_f32 v209, 0x3ed4b147, v187, -v208
	v_fmac_f32_e32 v208, 0x3ed4b147, v187
	v_add_f32_e32 v4, v209, v4
	;; [unrolled: 6-line block ×3, first 2 shown]
	v_fmamk_f32 v210, v178, 0xbe11bafb, v200
	v_add_f32_e32 v5, v210, v5
	ds_write2_b64 v221, v[2:3], v[4:5] offset0:28 offset1:35
	v_fma_f32 v3, 0xbe11bafb, v175, -v182
	v_fma_f32 v4, 0x3f575c64, v188, -v190
	;; [unrolled: 1-line block ×3, first 2 shown]
	v_add_f32_e32 v2, v189, v169
	v_add_f32_e32 v3, v3, v168
	;; [unrolled: 1-line block ×3, first 2 shown]
	v_fma_f32 v166, 0xbf27a4f4, v188, -v207
	v_add_f32_e32 v2, v181, v2
	v_add_f32_e32 v3, v4, v3
	v_fma_f32 v4, 0xbf75a155, v180, -v192
	v_add_f32_e32 v5, v166, v5
	v_fma_f32 v166, 0x3ed4b147, v180, -v206
	v_add_f32_e32 v2, v191, v2
	v_add_f32_e32 v3, v4, v3
	v_fma_f32 v4, 0x3ed4b147, v178, -v216
	v_add_f32_e32 v5, v166, v5
	v_fma_f32 v166, 0xbe11bafb, v178, -v200
	v_add_f32_e32 v2, v215, v2
	v_add_f32_e32 v3, v4, v3
	;; [unrolled: 1-line block ×7, first 2 shown]
	ds_write2_b64 v221, v[4:5], v[2:3] offset0:42 offset1:49
	v_fma_f32 v3, 0xbf27a4f4, v175, -v21
	v_fma_f32 v4, 0xbf75a155, v188, -v29
	v_fma_f32 v5, 0xbf75a155, v175, -v35
	v_add_f32_e32 v2, v20, v161
	v_fma_f32 v20, 0x3ed4b147, v188, -v37
	v_add_f32_e32 v3, v3, v160
	v_sub_f32_e32 v21, v120, v137
	v_add_f32_e32 v5, v5, v158
	v_add_f32_e32 v2, v28, v2
	v_sub_f32_e32 v28, v118, v136
	v_add_f32_e32 v3, v4, v3
	v_fma_f32 v4, 0xbe11bafb, v180, -v31
	v_add_f32_e32 v5, v20, v5
	v_fma_f32 v20, 0x3f575c64, v180, -v39
	v_add_f32_e32 v2, v30, v2
	v_mul_f32_e32 v30, 0xbf68dda4, v28
	v_add_f32_e32 v3, v4, v3
	v_fma_f32 v4, 0x3f575c64, v178, -v33
	v_add_f32_e32 v5, v20, v5
	v_fma_f32 v20, 0xbf27a4f4, v178, -v129
	v_add_f32_e32 v2, v32, v2
	v_add_f32_e32 v35, v131, v126
	;; [unrolled: 1-line block ×7, first 2 shown]
	v_mul_f32_e32 v32, 0xbf68dda4, v21
	v_add_f32_e32 v4, v36, v4
	v_sub_f32_e32 v36, v130, v125
	v_fma_f32 v31, 0x3ed4b147, v20, -v30
	v_sub_f32_e32 v34, v131, v126
	v_fmamk_f32 v33, v29, 0x3ed4b147, v32
	v_add_f32_e32 v4, v38, v4
	v_mul_f32_e32 v38, 0xbf7d64f0, v36
	v_add_f32_e32 v31, v31, v150
	v_add_f32_e32 v37, v130, v125
	;; [unrolled: 1-line block ×4, first 2 shown]
	v_fma_f32 v39, 0xbe11bafb, v35, -v38
	v_add_f32_e32 v124, v119, v134
	v_mul_f32_e32 v149, 0xbf0a6770, v34
	v_fmac_f32_e32 v30, 0x3ed4b147, v20
	ds_write2_b64 v221, v[4:5], v[2:3] offset0:56 offset1:63
	v_fma_f32 v2, 0x3ed4b147, v175, -v197
	v_fma_f32 v3, 0xbe11bafb, v188, -v203
	v_add_f32_e32 v4, v174, v153
	v_fma_f32 v5, 0xbf27a4f4, v180, -v205
	v_add_f32_e32 v31, v39, v31
	v_add_f32_e32 v2, v2, v154
	v_mul_f32_e32 v39, 0xbf7d64f0, v34
	v_add_f32_e32 v4, v194, v4
	v_fmac_f32_e32 v38, 0xbe11bafb, v35
	v_add_f32_e32 v2, v3, v2
	v_fmamk_f32 v81, v37, 0xbe11bafb, v39
	v_add_f32_e32 v3, v198, v4
	v_add_f32_e32 v4, v5, v2
	v_fma_f32 v5, 0xbf75a155, v178, -v199
	v_add_f32_e32 v2, v179, v3
	v_add_f32_e32 v33, v81, v33
	;; [unrolled: 1-line block ×6, first 2 shown]
	v_sub_f32_e32 v120, v121, v135
	ds_write_b64 v221, v[2:3] offset:560
	v_add_f32_e32 v5, v5, v130
	v_add_f32_e32 v4, v4, v131
	v_mul_u32_u24_sdwa v2, v27, v164 dst_sel:DWORD dst_unused:UNUSED_PAD src0_sel:WORD_0 src1_sel:DWORD
	v_mul_f32_e32 v27, 0xbf4178ce, v28
	v_mul_f32_e32 v130, 0x3f7d64f0, v120
	v_add_f32_e32 v5, v5, v119
	v_add_f32_e32 v4, v4, v121
	v_sub_f32_e32 v121, v119, v134
	v_add_lshl_u32 v154, v2, v71, 3
	v_fma_f32 v2, 0xbf27a4f4, v20, -v27
	v_add_f32_e32 v5, v5, v132
	v_add_f32_e32 v4, v4, v133
	v_mul_f32_e32 v71, 0x3e903f40, v36
	v_mul_f32_e32 v150, 0xbe903f40, v121
	v_add_f32_e32 v2, v2, v148
	v_add_f32_e32 v5, v5, v122
	;; [unrolled: 1-line block ×3, first 2 shown]
	v_mul_f32_e32 v151, 0xbe903f40, v120
	v_fmac_f32_e32 v27, 0xbf27a4f4, v20
	buffer_store_dword v154, off, s[20:23], 0 offset:476 ; 4-byte Folded Spill
	v_add_f32_e32 v5, v5, v134
	v_add_f32_e32 v4, v4, v135
	v_mul_f32_e32 v135, 0x3f68dda4, v36
	v_mul_f32_e32 v134, 0x3e903f40, v21
	v_add_f32_e32 v5, v5, v125
	v_add_f32_e32 v4, v4, v126
	v_mul_f32_e32 v125, 0xbf4178ce, v121
	v_mul_f32_e32 v126, 0xbf4178ce, v120
	v_add_f32_e32 v5, v5, v136
	v_add_f32_e32 v4, v4, v137
	v_fma_f32 v118, 0xbf27a4f4, v81, -v125
	v_fma_f32 v136, 0x3ed4b147, v35, -v135
	v_fmac_f32_e32 v135, 0x3ed4b147, v35
	v_add_f32_e32 v5, v5, v128
	v_sub_f32_e32 v128, v132, v122
	v_add_f32_e32 v4, v4, v127
	v_add_f32_e32 v31, v118, v31
	v_fmamk_f32 v118, v124, 0xbf27a4f4, v126
	v_add_f32_e32 v127, v133, v123
	v_mul_f32_e32 v129, 0xbe903f40, v128
	v_sub_f32_e32 v123, v133, v123
	v_add_f32_e32 v122, v132, v122
	v_add_f32_e32 v33, v118, v33
	v_mul_f32_e32 v131, 0x3f0a6770, v128
	v_fma_f32 v118, 0xbf75a155, v127, -v129
	v_mul_f32_e32 v132, 0x3f0a6770, v123
	v_mul_f32_e32 v133, 0x3e903f40, v28
	;; [unrolled: 1-line block ×4, first 2 shown]
	v_add_f32_e32 v118, v118, v31
	v_mul_f32_e32 v31, 0xbe903f40, v123
	v_fmac_f32_e32 v125, 0xbf27a4f4, v81
	v_fmac_f32_e32 v129, 0xbf75a155, v127
	v_fmamk_f32 v119, v122, 0xbf75a155, v31
	v_add_f32_e32 v119, v119, v33
	v_mul_f32_e32 v33, 0xbf4178ce, v21
	ds_write2_b64 v154, v[4:5], v[118:119] offset1:7
	v_fmamk_f32 v3, v29, 0xbf27a4f4, v33
	v_fma_f32 v4, 0xbf75a155, v35, -v71
	v_mul_f32_e32 v118, 0x3e903f40, v34
	v_mul_f32_e32 v119, 0x3f7d64f0, v121
	v_fmamk_f32 v5, v29, 0xbf75a155, v134
	v_add_f32_e32 v3, v3, v147
	v_add_f32_e32 v2, v4, v2
	v_fmamk_f32 v4, v37, 0xbf75a155, v118
	v_fmac_f32_e32 v71, 0xbf75a155, v35
	v_add_f32_e32 v5, v5, v145
	v_add_f32_e32 v3, v4, v3
	v_fma_f32 v4, 0xbe11bafb, v81, -v119
	v_fmac_f32_e32 v119, 0xbe11bafb, v81
	v_add_f32_e32 v2, v4, v2
	v_fmamk_f32 v4, v124, 0xbe11bafb, v130
	v_add_f32_e32 v3, v4, v3
	v_fma_f32 v4, 0x3f575c64, v127, -v131
	v_fmac_f32_e32 v131, 0x3f575c64, v127
	v_add_f32_e32 v2, v4, v2
	v_fmamk_f32 v4, v122, 0x3f575c64, v132
	v_add_f32_e32 v3, v4, v3
	v_fma_f32 v4, 0xbf75a155, v20, -v133
	v_fmac_f32_e32 v133, 0xbf75a155, v20
	v_add_f32_e32 v4, v4, v146
	v_add_f32_e32 v4, v136, v4
	v_mul_f32_e32 v136, 0x3f68dda4, v34
	v_mul_f32_e32 v34, 0xbf4178ce, v34
	v_fmamk_f32 v137, v37, 0x3ed4b147, v136
	v_add_f32_e32 v5, v137, v5
	v_mul_f32_e32 v137, 0xbf0a6770, v121
	v_mul_f32_e32 v121, 0x3f68dda4, v121
	v_fma_f32 v145, 0x3f575c64, v81, -v137
	v_fmac_f32_e32 v137, 0x3f575c64, v81
	v_add_f32_e32 v4, v145, v4
	v_mul_f32_e32 v145, 0xbf0a6770, v120
	v_mul_f32_e32 v120, 0x3f68dda4, v120
	v_fmamk_f32 v146, v124, 0x3f575c64, v145
	v_add_f32_e32 v5, v146, v5
	v_mul_f32_e32 v146, 0xbf4178ce, v128
	v_mul_f32_e32 v128, 0xbf7d64f0, v128
	v_fma_f32 v147, 0xbf27a4f4, v127, -v146
	v_fmac_f32_e32 v146, 0xbf27a4f4, v127
	v_add_f32_e32 v4, v147, v4
	v_mul_f32_e32 v147, 0xbf4178ce, v123
	v_mul_f32_e32 v123, 0xbf7d64f0, v123
	v_fmamk_f32 v148, v122, 0xbf27a4f4, v147
	v_add_f32_e32 v5, v148, v5
	v_mul_f32_e32 v148, 0x3f7d64f0, v28
	v_mul_f32_e32 v28, 0x3f0a6770, v28
	ds_write2_b64 v154, v[2:3], v[4:5] offset0:14 offset1:21
	v_fma_f32 v2, 0xbe11bafb, v20, -v148
	v_fmac_f32_e32 v148, 0xbe11bafb, v20
	v_add_f32_e32 v2, v2, v144
	v_mul_f32_e32 v144, 0x3f7d64f0, v21
	v_mul_f32_e32 v21, 0x3f0a6770, v21
	v_fmamk_f32 v3, v29, 0xbe11bafb, v144
	v_fmamk_f32 v5, v29, 0x3f575c64, v21
	v_add_f32_e32 v3, v3, v143
	v_mul_f32_e32 v143, 0xbf0a6770, v36
	v_mul_f32_e32 v36, 0xbf4178ce, v36
	v_add_f32_e32 v5, v5, v141
	v_fma_f32 v4, 0x3f575c64, v35, -v143
	v_fma_f32 v141, 0xbf27a4f4, v35, -v36
	v_fmac_f32_e32 v143, 0x3f575c64, v35
	v_fmac_f32_e32 v36, 0xbf27a4f4, v35
	v_sub_f32_e32 v35, v104, v98
	v_add_f32_e32 v2, v4, v2
	v_fmamk_f32 v4, v37, 0x3f575c64, v149
	v_add_f32_e32 v3, v4, v3
	v_fma_f32 v4, 0xbf75a155, v81, -v150
	v_fmac_f32_e32 v150, 0xbf75a155, v81
	v_add_f32_e32 v2, v4, v2
	v_fmamk_f32 v4, v124, 0xbf75a155, v151
	v_add_f32_e32 v3, v4, v3
	v_fma_f32 v4, 0x3ed4b147, v127, -v152
	v_fmac_f32_e32 v152, 0x3ed4b147, v127
	;; [unrolled: 5-line block ×3, first 2 shown]
	v_add_f32_e32 v20, v109, v111
	v_add_f32_e32 v4, v4, v142
	;; [unrolled: 1-line block ×3, first 2 shown]
	v_fmamk_f32 v141, v37, 0xbf27a4f4, v34
	v_add_f32_e32 v5, v141, v5
	v_fma_f32 v141, 0x3ed4b147, v81, -v121
	v_fmac_f32_e32 v121, 0x3ed4b147, v81
	v_add_f32_e32 v4, v141, v4
	v_fmamk_f32 v141, v124, 0x3ed4b147, v120
	v_add_f32_e32 v5, v141, v5
	v_fma_f32 v141, 0xbe11bafb, v127, -v128
	v_fmac_f32_e32 v128, 0xbe11bafb, v127
	v_add_f32_e32 v4, v141, v4
	v_fmamk_f32 v141, v122, 0xbe11bafb, v123
	v_add_f32_e32 v5, v141, v5
	ds_write2_b64 v154, v[2:3], v[4:5] offset0:28 offset1:35
	v_fma_f32 v3, 0xbe11bafb, v29, -v144
	v_fma_f32 v4, 0x3f575c64, v37, -v149
	;; [unrolled: 1-line block ×3, first 2 shown]
	v_add_f32_e32 v2, v148, v139
	v_fma_f32 v21, 0xbf27a4f4, v37, -v34
	v_add_f32_e32 v3, v3, v138
	v_add_f32_e32 v34, v105, v99
	;; [unrolled: 1-line block ×5, first 2 shown]
	v_fma_f32 v4, 0xbf75a155, v124, -v151
	v_add_f32_e32 v5, v21, v5
	v_fma_f32 v21, 0x3ed4b147, v124, -v120
	v_add_f32_e32 v2, v150, v2
	v_add_f32_e32 v3, v4, v3
	v_fma_f32 v4, 0x3ed4b147, v122, -v153
	v_add_f32_e32 v5, v21, v5
	v_fma_f32 v21, 0xbe11bafb, v122, -v123
	v_add_f32_e32 v2, v152, v2
	v_add_f32_e32 v3, v4, v3
	;; [unrolled: 1-line block ×4, first 2 shown]
	v_fma_f32 v21, 0x3ed4b147, v37, -v136
	v_add_f32_e32 v28, v108, v110
	v_add_f32_e32 v4, v36, v4
	;; [unrolled: 1-line block ×5, first 2 shown]
	ds_write2_b64 v154, v[4:5], v[2:3] offset0:42 offset1:49
	v_fma_f32 v3, 0xbf27a4f4, v29, -v33
	v_fma_f32 v4, 0xbf75a155, v37, -v118
	v_fma_f32 v5, 0xbf75a155, v29, -v134
	v_add_f32_e32 v2, v27, v91
	v_sub_f32_e32 v27, v108, v110
	v_add_f32_e32 v3, v3, v90
	v_sub_f32_e32 v33, v105, v99
	v_add_f32_e32 v5, v5, v88
	v_add_f32_e32 v2, v71, v2
	v_sub_f32_e32 v71, v107, v97
	v_add_f32_e32 v3, v4, v3
	v_fma_f32 v4, 0xbe11bafb, v124, -v130
	v_add_f32_e32 v5, v21, v5
	v_fma_f32 v21, 0x3f575c64, v124, -v145
	v_add_f32_e32 v2, v119, v2
	v_mul_f32_e32 v86, 0xbf4178ce, v71
	v_add_f32_e32 v3, v4, v3
	v_fma_f32 v4, 0x3f575c64, v122, -v132
	v_add_f32_e32 v5, v21, v5
	v_fma_f32 v21, 0xbf27a4f4, v122, -v147
	v_add_f32_e32 v2, v131, v2
	v_sub_f32_e32 v90, v100, v102
	v_add_f32_e32 v3, v4, v3
	v_add_f32_e32 v4, v133, v89
	;; [unrolled: 1-line block ×3, first 2 shown]
	v_sub_f32_e32 v21, v109, v111
	v_add_f32_e32 v88, v101, v103
	v_sub_f32_e32 v89, v101, v103
	v_add_f32_e32 v4, v135, v4
	v_add_f32_e32 v91, v100, v102
	v_mul_f32_e32 v119, 0xbe903f40, v71
	v_mul_f32_e32 v120, 0x3f68dda4, v90
	;; [unrolled: 1-line block ×3, first 2 shown]
	v_add_f32_e32 v4, v137, v4
	v_add_f32_e32 v4, v146, v4
	ds_write2_b64 v154, v[4:5], v[2:3] offset0:56 offset1:63
	v_fma_f32 v2, 0x3ed4b147, v29, -v32
	v_add_f32_e32 v3, v30, v82
	v_fma_f32 v4, 0xbe11bafb, v37, -v39
	v_fma_f32 v5, 0xbf75a155, v122, -v31
	v_mul_f32_e32 v29, 0xbf68dda4, v27
	v_add_f32_e32 v2, v2, v83
	v_add_f32_e32 v3, v38, v3
	v_mul_f32_e32 v37, 0xbf7d64f0, v35
	v_mul_f32_e32 v31, 0xbf68dda4, v21
	v_fma_f32 v30, 0x3ed4b147, v20, -v29
	v_add_f32_e32 v2, v4, v2
	v_fma_f32 v4, 0xbf27a4f4, v124, -v126
	v_add_f32_e32 v3, v125, v3
	;; [unrolled: 2-line block ×3, first 2 shown]
	v_fmamk_f32 v32, v28, 0x3ed4b147, v31
	v_add_f32_e32 v4, v4, v2
	v_add_f32_e32 v2, v129, v3
	v_sub_f32_e32 v83, v106, v96
	v_add_f32_e32 v30, v38, v30
	v_mul_f32_e32 v38, 0xbf7d64f0, v33
	v_add_f32_e32 v3, v5, v4
	v_add_f32_e32 v4, v201, v109
	;; [unrolled: 1-line block ×4, first 2 shown]
	v_fmamk_f32 v39, v36, 0xbe11bafb, v38
	ds_write_b64 v154, v[2:3] offset:560
	v_add_f32_e32 v4, v4, v105
	v_add_f32_e32 v5, v5, v104
	v_mul_u32_u24_sdwa v2, v69, v164 dst_sel:DWORD dst_unused:UNUSED_PAD src0_sel:WORD_0 src1_sel:DWORD
	v_add_f32_e32 v32, v39, v32
	v_add_f32_e32 v39, v107, v97
	;; [unrolled: 1-line block ×4, first 2 shown]
	v_add_lshl_u32 v123, v2, v70, 3
	v_mul_f32_e32 v69, 0xbf4178ce, v21
	v_mul_f32_e32 v70, 0x3e903f40, v35
	v_add_f32_e32 v4, v4, v101
	v_add_f32_e32 v5, v5, v100
	v_mul_f32_e32 v100, 0x3e903f40, v27
	v_fmamk_f32 v3, v28, 0xbf27a4f4, v69
	v_mul_f32_e32 v101, 0x3e903f40, v21
	v_add_f32_e32 v4, v4, v103
	v_add_f32_e32 v5, v5, v102
	v_mul_f32_e32 v102, 0x3f68dda4, v35
	v_add_f32_e32 v3, v3, v185
	v_mul_f32_e32 v109, 0x3f7d64f0, v21
	v_add_f32_e32 v4, v4, v97
	v_add_f32_e32 v5, v5, v96
	v_mul_f32_e32 v97, 0x3f7d64f0, v71
	v_fma_f32 v103, 0x3ed4b147, v34, -v102
	v_mul_f32_e32 v118, 0xbe903f40, v83
	v_add_f32_e32 v4, v4, v99
	v_add_f32_e32 v5, v5, v98
	v_mul_f32_e32 v98, 0x3f0a6770, v90
	v_mul_f32_e32 v99, 0x3f0a6770, v89
	;; [unrolled: 1-line block ×3, first 2 shown]
	v_add_f32_e32 v4, v4, v111
	v_add_f32_e32 v5, v5, v110
	v_mul_f32_e32 v110, 0xbf0a6770, v35
	v_mul_f32_e32 v111, 0xbf0a6770, v33
	;; [unrolled: 1-line block ×3, first 2 shown]
	v_add_f32_e32 v4, v4, v85
	v_mul_f32_e32 v85, 0xbf4178ce, v83
	v_add_f32_e32 v5, v5, v84
	v_add_f32_e32 v84, v106, v96
	v_mul_f32_e32 v96, 0xbe903f40, v90
	v_fma_f32 v122, 0xbf27a4f4, v34, -v35
	v_fma_f32 v81, 0xbf27a4f4, v39, -v85
	v_fmac_f32_e32 v35, 0xbf27a4f4, v34
	v_fmac_f32_e32 v29, 0x3ed4b147, v20
	;; [unrolled: 1-line block ×4, first 2 shown]
	v_add_f32_e32 v30, v81, v30
	v_fmamk_f32 v81, v84, 0xbf27a4f4, v86
	v_fmac_f32_e32 v85, 0xbf27a4f4, v39
	v_add_f32_e32 v32, v81, v32
	v_fma_f32 v81, 0xbf75a155, v88, -v96
	v_fmac_f32_e32 v96, 0xbf75a155, v88
	v_add_f32_e32 v81, v81, v30
	v_mul_f32_e32 v30, 0xbe903f40, v89
	v_fmamk_f32 v82, v91, 0xbf75a155, v30
	v_add_f32_e32 v82, v82, v32
	v_mul_f32_e32 v32, 0xbf4178ce, v27
	ds_write2_b64 v123, v[4:5], v[81:82] offset1:7
	v_fma_f32 v2, 0xbf27a4f4, v20, -v32
	v_fma_f32 v4, 0xbf75a155, v34, -v70
	v_mul_f32_e32 v81, 0x3e903f40, v33
	v_mul_f32_e32 v82, 0x3f7d64f0, v83
	v_fmamk_f32 v5, v28, 0xbf75a155, v101
	v_add_f32_e32 v2, v2, v186
	v_fmac_f32_e32 v32, 0xbf27a4f4, v20
	v_fmac_f32_e32 v70, 0xbf75a155, v34
	v_add_f32_e32 v5, v5, v183
	v_add_f32_e32 v2, v4, v2
	v_fmamk_f32 v4, v36, 0xbf75a155, v81
	v_add_f32_e32 v3, v4, v3
	v_fma_f32 v4, 0xbe11bafb, v39, -v82
	v_fmac_f32_e32 v82, 0xbe11bafb, v39
	v_add_f32_e32 v2, v4, v2
	v_fmamk_f32 v4, v84, 0xbe11bafb, v97
	v_add_f32_e32 v3, v4, v3
	v_fma_f32 v4, 0x3f575c64, v88, -v98
	v_fmac_f32_e32 v98, 0x3f575c64, v88
	;; [unrolled: 5-line block ×3, first 2 shown]
	v_add_f32_e32 v4, v4, v184
	v_add_f32_e32 v4, v103, v4
	v_mul_f32_e32 v103, 0x3f68dda4, v33
	v_mul_f32_e32 v33, 0xbf4178ce, v33
	v_fmamk_f32 v104, v36, 0x3ed4b147, v103
	v_add_f32_e32 v5, v104, v5
	v_mul_f32_e32 v104, 0xbf0a6770, v83
	v_mul_f32_e32 v83, 0x3f68dda4, v83
	v_fma_f32 v105, 0x3f575c64, v39, -v104
	v_fmac_f32_e32 v104, 0x3f575c64, v39
	v_add_f32_e32 v4, v105, v4
	v_mul_f32_e32 v105, 0xbf0a6770, v71
	v_mul_f32_e32 v71, 0x3f68dda4, v71
	v_fmamk_f32 v106, v84, 0x3f575c64, v105
	v_add_f32_e32 v5, v106, v5
	v_mul_f32_e32 v106, 0xbf4178ce, v90
	v_mul_f32_e32 v90, 0xbf7d64f0, v90
	v_fma_f32 v107, 0xbf27a4f4, v88, -v106
	v_fmac_f32_e32 v106, 0xbf27a4f4, v88
	v_add_f32_e32 v4, v107, v4
	v_mul_f32_e32 v107, 0xbf4178ce, v89
	v_mul_f32_e32 v89, 0xbf7d64f0, v89
	v_fmamk_f32 v108, v91, 0xbf27a4f4, v107
	v_add_f32_e32 v5, v108, v5
	v_mul_f32_e32 v108, 0x3f7d64f0, v27
	v_mul_f32_e32 v27, 0x3f0a6770, v27
	ds_write2_b64 v123, v[2:3], v[4:5] offset0:14 offset1:21
	v_fma_f32 v2, 0xbe11bafb, v20, -v108
	v_fmamk_f32 v3, v28, 0xbe11bafb, v109
	v_fma_f32 v4, 0x3f575c64, v34, -v110
	v_fmamk_f32 v5, v28, 0x3f575c64, v21
	v_fmac_f32_e32 v108, 0xbe11bafb, v20
	v_add_f32_e32 v2, v2, v173
	v_add_f32_e32 v3, v3, v172
	v_fmac_f32_e32 v110, 0x3f575c64, v34
	v_add_f32_e32 v5, v5, v170
	v_add_f32_e32 v2, v4, v2
	v_fmamk_f32 v4, v36, 0x3f575c64, v111
	v_add_f32_e32 v3, v4, v3
	v_fma_f32 v4, 0xbf75a155, v39, -v118
	v_fmac_f32_e32 v118, 0xbf75a155, v39
	v_add_f32_e32 v2, v4, v2
	v_fmamk_f32 v4, v84, 0xbf75a155, v119
	v_add_f32_e32 v3, v4, v3
	v_fma_f32 v4, 0x3ed4b147, v88, -v120
	v_fmac_f32_e32 v120, 0x3ed4b147, v88
	v_add_f32_e32 v2, v4, v2
	v_fmamk_f32 v4, v91, 0x3ed4b147, v121
	v_add_f32_e32 v3, v4, v3
	v_fma_f32 v4, 0x3f575c64, v20, -v27
	v_fmac_f32_e32 v27, 0x3f575c64, v20
	v_fma_f32 v20, 0xbf27a4f4, v28, -v69
	v_add_f32_e32 v4, v4, v171
	v_add_f32_e32 v20, v20, v114
	;; [unrolled: 1-line block ×4, first 2 shown]
	v_fmamk_f32 v122, v36, 0xbf27a4f4, v33
	v_add_f32_e32 v5, v122, v5
	v_fma_f32 v122, 0x3ed4b147, v39, -v83
	v_fmac_f32_e32 v83, 0x3ed4b147, v39
	v_add_f32_e32 v4, v122, v4
	v_fmamk_f32 v122, v84, 0x3ed4b147, v71
	v_add_f32_e32 v5, v122, v5
	v_fma_f32 v122, 0xbe11bafb, v88, -v90
	v_fmac_f32_e32 v90, 0xbe11bafb, v88
	v_add_f32_e32 v4, v122, v4
	v_fmamk_f32 v122, v91, 0xbe11bafb, v89
	v_add_f32_e32 v5, v122, v5
	ds_write2_b64 v123, v[2:3], v[4:5] offset0:28 offset1:35
	v_fma_f32 v3, 0xbe11bafb, v28, -v109
	v_fma_f32 v4, 0x3f575c64, v36, -v111
	;; [unrolled: 1-line block ×3, first 2 shown]
	v_add_f32_e32 v2, v108, v163
	v_fma_f32 v21, 0xbf27a4f4, v36, -v33
	v_add_f32_e32 v3, v3, v162
	v_add_f32_e32 v5, v5, v80
	;; [unrolled: 1-line block ×4, first 2 shown]
	v_fma_f32 v4, 0xbf75a155, v84, -v119
	v_add_f32_e32 v5, v21, v5
	v_fma_f32 v21, 0x3ed4b147, v84, -v71
	v_add_f32_e32 v2, v118, v2
	v_add_f32_e32 v118, v9, v95
	;; [unrolled: 1-line block ×3, first 2 shown]
	v_fma_f32 v4, 0x3ed4b147, v91, -v121
	v_add_f32_e32 v5, v21, v5
	v_fma_f32 v21, 0xbe11bafb, v91, -v89
	v_add_f32_e32 v2, v120, v2
	v_add_f32_e32 v3, v4, v3
	;; [unrolled: 1-line block ×4, first 2 shown]
	v_fma_f32 v21, 0xbe11bafb, v36, -v38
	v_add_f32_e32 v27, v32, v87
	v_add_f32_e32 v4, v35, v4
	;; [unrolled: 1-line block ×7, first 2 shown]
	ds_write2_b64 v123, v[4:5], v[2:3] offset0:42 offset1:49
	v_mul_f32_e32 v2, v113, v220
	v_mul_f32_e32 v5, v112, v220
	v_fma_f32 v3, 0x3ed4b147, v28, -v31
	v_sub_f32_e32 v31, v7, v94
	v_fma_f32 v4, v112, v219, -v2
	buffer_store_dword v217, off, s[20:23], 0 offset:572 ; 4-byte Folded Spill
	buffer_store_dword v218, off, s[20:23], 0 offset:576 ; 4-byte Folded Spill
	;; [unrolled: 1-line block ×4, first 2 shown]
	v_add_f32_e32 v3, v3, v156
	v_add_f32_e32 v2, v29, v157
	v_fma_f32 v29, 0xbf75a155, v36, -v81
	v_add_f32_e32 v112, v14, v15
	v_mul_f32_e32 v82, 0xbf4178ce, v31
	v_add_f32_e32 v3, v21, v3
	v_fma_f32 v21, 0xbf27a4f4, v84, -v86
	v_add_f32_e32 v20, v29, v20
	v_fma_f32 v29, 0xbe11bafb, v84, -v97
	v_add_f32_e32 v2, v37, v2
	v_add_f32_e32 v3, v21, v3
	v_fma_f32 v21, 0xbf75a155, v91, -v30
	v_fma_f32 v30, 0x3ed4b147, v36, -v103
	v_add_f32_e32 v20, v29, v20
	v_fma_f32 v29, 0x3f575c64, v91, -v99
	v_add_f32_e32 v2, v85, v2
	v_add_f32_e32 v3, v21, v3
	v_fma_f32 v21, 0xbf75a155, v28, -v101
	v_add_f32_e32 v28, v100, v115
	v_add_f32_e32 v71, v29, v20
	;; [unrolled: 1-line block ×6, first 2 shown]
	v_mul_f32_e32 v85, 0xbf68dda4, v31
	v_add_f32_e32 v100, v10, v19
	v_add_f32_e32 v101, v12, v93
	;; [unrolled: 1-line block ×3, first 2 shown]
	v_fma_f32 v30, 0x3f575c64, v84, -v105
	v_add_f32_e32 v28, v104, v28
	v_fma_f32 v32, 0x3ed4b147, v118, -v85
	v_add_f32_e32 v102, v11, v18
	v_add_f32_e32 v103, v13, v92
	;; [unrolled: 1-line block ×3, first 2 shown]
	v_fma_f32 v30, 0xbf27a4f4, v91, -v107
	v_add_f32_e32 v80, v106, v28
	v_add_f32_e32 v81, v30, v21
	v_sub_f32_e32 v21, v9, v95
	ds_write2_b64 v123, v[80:81], v[70:71] offset0:56 offset1:63
	v_mul_f32_e32 v70, 0xbf68dda4, v21
	v_fmamk_f32 v80, v118, 0xbf27a4f4, v82
	v_fmamk_f32 v29, v114, 0x3ed4b147, v70
	v_fmac_f32_e32 v5, v113, v219
	v_add_f32_e32 v113, v16, v17
	v_sub_f32_e32 v20, v26, v5
	v_add_f32_e32 v115, v26, v5
	v_mul_f32_e32 v27, 0xbf0a6770, v20
	v_fmamk_f32 v28, v96, 0x3f575c64, v27
	v_add_f32_e32 v28, v0, v28
	v_add_f32_e32 v28, v29, v28
	v_sub_f32_e32 v29, v6, v4
	v_mul_f32_e32 v86, 0xbf0a6770, v29
	v_fma_f32 v30, 0x3f575c64, v115, -v86
	v_add_f32_e32 v30, v1, v30
	v_add_f32_e32 v30, v32, v30
	v_sub_f32_e32 v32, v12, v93
	v_mul_f32_e32 v71, 0xbf7d64f0, v32
	v_mul_f32_e32 v83, 0x3e903f40, v32
	v_fmamk_f32 v33, v100, 0xbe11bafb, v71
	v_add_f32_e32 v28, v33, v28
	v_sub_f32_e32 v33, v10, v19
	v_mul_f32_e32 v97, 0xbf7d64f0, v33
	v_mul_f32_e32 v88, 0x3e903f40, v33
	;; [unrolled: 1-line block ×3, first 2 shown]
	v_fma_f32 v34, 0xbe11bafb, v101, -v97
	v_add_f32_e32 v30, v34, v30
	v_sub_f32_e32 v34, v13, v92
	v_mul_f32_e32 v84, 0xbf4178ce, v34
	v_mul_f32_e32 v89, 0x3f7d64f0, v34
	;; [unrolled: 1-line block ×3, first 2 shown]
	v_fmamk_f32 v35, v102, 0xbf27a4f4, v84
	v_add_f32_e32 v28, v35, v28
	v_sub_f32_e32 v35, v11, v18
	v_mul_f32_e32 v98, 0xbf4178ce, v35
	v_mul_f32_e32 v90, 0x3f7d64f0, v35
	;; [unrolled: 1-line block ×3, first 2 shown]
	v_fma_f32 v36, 0xbf27a4f4, v103, -v98
	v_add_f32_e32 v30, v36, v30
	v_sub_f32_e32 v36, v16, v17
	v_mul_f32_e32 v87, 0xbe903f40, v36
	v_mul_f32_e32 v91, 0x3f0a6770, v36
	;; [unrolled: 1-line block ×3, first 2 shown]
	v_fmamk_f32 v37, v112, 0xbf75a155, v87
	v_add_f32_e32 v38, v37, v28
	v_sub_f32_e32 v28, v14, v15
	v_mul_f32_e32 v99, 0xbe903f40, v28
	v_mul_f32_e32 v104, 0x3f0a6770, v28
	;; [unrolled: 1-line block ×3, first 2 shown]
	v_fma_f32 v37, 0xbf75a155, v113, -v99
	v_fmamk_f32 v81, v113, 0x3f575c64, v104
	v_add_f32_e32 v39, v37, v30
	v_mul_f32_e32 v30, 0xbf68dda4, v20
	buffer_store_dword v38, off, s[20:23], 0 offset:68 ; 4-byte Folded Spill
	buffer_store_dword v39, off, s[20:23], 0 offset:72 ; 4-byte Folded Spill
	v_fma_f32 v37, 0x3ed4b147, v96, -v30
	v_mul_f32_e32 v38, 0xbf4178ce, v21
	v_fmac_f32_e32 v30, 0x3ed4b147, v96
	v_add_f32_e32 v37, v0, v37
	v_fma_f32 v39, 0xbf27a4f4, v114, -v38
	v_add_f32_e32 v30, v0, v30
	v_fmac_f32_e32 v38, 0xbf27a4f4, v114
	v_add_f32_e32 v37, v39, v37
	v_mul_f32_e32 v39, 0xbf68dda4, v29
	v_add_f32_e32 v30, v38, v30
	v_fma_f32 v38, 0xbf27a4f4, v118, -v82
	v_fmamk_f32 v69, v115, 0x3ed4b147, v39
	v_add_f32_e32 v69, v1, v69
	v_add_f32_e32 v69, v80, v69
	v_fma_f32 v80, 0xbf75a155, v100, -v83
	v_fmac_f32_e32 v83, 0xbf75a155, v100
	v_add_f32_e32 v37, v80, v37
	v_fmamk_f32 v80, v101, 0xbf75a155, v88
	v_add_f32_e32 v30, v83, v30
	v_add_f32_e32 v69, v80, v69
	v_fma_f32 v80, 0xbe11bafb, v102, -v89
	v_fmac_f32_e32 v89, 0xbe11bafb, v102
	v_add_f32_e32 v37, v80, v37
	v_fmamk_f32 v80, v103, 0xbe11bafb, v90
	v_add_f32_e32 v30, v89, v30
	v_mul_f32_e32 v89, 0x3e903f40, v31
	v_add_f32_e32 v69, v80, v69
	v_fma_f32 v80, 0x3f575c64, v112, -v91
	v_fmac_f32_e32 v91, 0x3f575c64, v112
	v_add_f32_e32 v81, v81, v69
	v_add_f32_e32 v80, v80, v37
	v_fma_f32 v37, 0x3ed4b147, v115, -v39
	v_add_f32_e32 v37, v1, v37
	v_add_f32_e32 v37, v38, v37
	v_fma_f32 v38, 0xbf75a155, v101, -v88
	v_mul_f32_e32 v88, 0xbf4178ce, v36
	v_mul_f32_e32 v36, 0xbf7d64f0, v36
	v_add_f32_e32 v37, v38, v37
	v_fma_f32 v38, 0xbe11bafb, v103, -v90
	v_add_f32_e32 v90, v91, v30
	v_mul_f32_e32 v30, 0xbf7d64f0, v20
	v_add_f32_e32 v37, v38, v37
	v_fma_f32 v38, 0x3f575c64, v113, -v104
	v_fmamk_f32 v104, v118, 0xbf75a155, v89
	v_add_f32_e32 v91, v38, v37
	v_fma_f32 v37, 0xbe11bafb, v96, -v30
	v_mul_f32_e32 v38, 0x3e903f40, v21
	v_fmac_f32_e32 v30, 0xbe11bafb, v96
	v_add_f32_e32 v37, v0, v37
	v_fma_f32 v39, 0xbf75a155, v114, -v38
	v_add_f32_e32 v30, v0, v30
	v_fmac_f32_e32 v38, 0xbf75a155, v114
	v_add_f32_e32 v37, v39, v37
	v_mul_f32_e32 v39, 0x3f68dda4, v32
	v_add_f32_e32 v30, v38, v30
	v_mul_f32_e32 v38, 0x3f7d64f0, v21
	v_mul_f32_e32 v21, 0x3f0a6770, v21
	v_fma_f32 v69, 0x3ed4b147, v100, -v39
	v_fmac_f32_e32 v39, 0x3ed4b147, v100
	v_add_f32_e32 v37, v69, v37
	v_mul_f32_e32 v69, 0xbf0a6770, v34
	v_add_f32_e32 v30, v39, v30
	v_fma_f32 v39, 0xbe11bafb, v114, -v38
	v_fmac_f32_e32 v38, 0xbe11bafb, v114
	v_mul_f32_e32 v34, 0x3f68dda4, v34
	v_fma_f32 v82, 0x3f575c64, v102, -v69
	v_fmac_f32_e32 v69, 0x3f575c64, v102
	v_add_f32_e32 v37, v82, v37
	v_fma_f32 v82, 0xbf27a4f4, v112, -v88
	v_add_f32_e32 v30, v69, v30
	v_fmac_f32_e32 v88, 0xbf27a4f4, v112
	v_add_f32_e32 v82, v82, v37
	v_mul_f32_e32 v37, 0xbf7d64f0, v29
	v_add_f32_e32 v88, v88, v30
	v_fmamk_f32 v83, v115, 0xbe11bafb, v37
	v_fma_f32 v30, 0xbe11bafb, v115, -v37
	v_fma_f32 v37, 0xbf75a155, v118, -v89
	v_add_f32_e32 v83, v1, v83
	v_add_f32_e32 v30, v1, v30
	;; [unrolled: 1-line block ×3, first 2 shown]
	v_mul_f32_e32 v104, 0x3f68dda4, v33
	v_add_f32_e32 v30, v37, v30
	v_mul_f32_e32 v33, 0xbf4178ce, v33
	v_fmamk_f32 v105, v101, 0x3ed4b147, v104
	v_fma_f32 v37, 0x3ed4b147, v101, -v104
	v_add_f32_e32 v83, v105, v83
	v_mul_f32_e32 v105, 0xbf0a6770, v35
	v_add_f32_e32 v30, v37, v30
	v_mul_f32_e32 v35, 0x3f68dda4, v35
	v_fmamk_f32 v106, v103, 0x3f575c64, v105
	v_fma_f32 v37, 0x3f575c64, v103, -v105
	v_fmamk_f32 v105, v113, 0x3ed4b147, v119
	v_add_f32_e32 v83, v106, v83
	v_mul_f32_e32 v106, 0xbf4178ce, v28
	v_add_f32_e32 v30, v37, v30
	v_mul_f32_e32 v28, 0xbf7d64f0, v28
	v_fma_f32 v37, 0xbf27a4f4, v113, -v106
	v_fmamk_f32 v107, v113, 0xbf27a4f4, v106
	v_mul_f32_e32 v106, 0x3f7d64f0, v31
	v_add_f32_e32 v89, v37, v30
	v_mul_f32_e32 v30, 0xbf4178ce, v20
	v_add_f32_e32 v83, v107, v83
	v_fmamk_f32 v104, v118, 0xbe11bafb, v106
	v_mul_f32_e32 v107, 0xbf0a6770, v32
	buffer_store_dword v80, off, s[20:23], 0 offset:4 ; 4-byte Folded Spill
	buffer_store_dword v81, off, s[20:23], 0 offset:8 ; 4-byte Folded Spill
	;; [unrolled: 1-line block ×4, first 2 shown]
	v_fma_f32 v37, 0xbf27a4f4, v96, -v30
	v_fmac_f32_e32 v30, 0xbf27a4f4, v96
	v_mul_f32_e32 v20, 0xbe903f40, v20
	buffer_store_dword v88, off, s[20:23], 0 offset:20 ; 4-byte Folded Spill
	buffer_store_dword v89, off, s[20:23], 0 offset:24 ; 4-byte Folded Spill
	;; [unrolled: 1-line block ×4, first 2 shown]
	v_mul_f32_e32 v32, 0xbf4178ce, v32
	v_add_f32_e32 v37, v0, v37
	v_add_f32_e32 v30, v0, v30
	;; [unrolled: 1-line block ×3, first 2 shown]
	v_mul_f32_e32 v39, 0xbf4178ce, v29
	v_add_f32_e32 v30, v38, v30
	v_fma_f32 v38, 0xbe11bafb, v118, -v106
	v_mul_f32_e32 v29, 0xbe903f40, v29
	v_fmamk_f32 v69, v115, 0xbf27a4f4, v39
	v_add_f32_e32 v69, v1, v69
	v_add_f32_e32 v69, v104, v69
	v_fma_f32 v104, 0x3f575c64, v100, -v107
	v_fmac_f32_e32 v107, 0x3f575c64, v100
	v_add_f32_e32 v37, v104, v37
	v_fmamk_f32 v104, v101, 0x3f575c64, v108
	v_add_f32_e32 v30, v107, v30
	v_add_f32_e32 v69, v104, v69
	v_fma_f32 v104, 0xbf75a155, v102, -v109
	v_fmac_f32_e32 v109, 0xbf75a155, v102
	v_add_f32_e32 v37, v104, v37
	;; [unrolled: 6-line block ×3, first 2 shown]
	v_add_f32_e32 v80, v104, v37
	v_fma_f32 v37, 0xbf27a4f4, v115, -v39
	v_add_f32_e32 v90, v111, v30
	v_fma_f32 v30, 0xbf75a155, v96, -v20
	v_fmac_f32_e32 v20, 0xbf75a155, v96
	v_add_f32_e32 v37, v1, v37
	v_add_f32_e32 v30, v0, v30
	;; [unrolled: 1-line block ×4, first 2 shown]
	v_fma_f32 v38, 0x3f575c64, v101, -v108
	v_add_f32_e32 v37, v38, v37
	v_fma_f32 v38, 0xbf75a155, v103, -v110
	v_add_f32_e32 v37, v38, v37
	;; [unrolled: 2-line block ×3, first 2 shown]
	v_fma_f32 v37, 0x3f575c64, v114, -v21
	v_fmac_f32_e32 v21, 0x3f575c64, v114
	v_add_f32_e32 v30, v37, v30
	v_fma_f32 v37, 0xbf27a4f4, v100, -v32
	v_add_f32_e32 v20, v21, v20
	v_fmac_f32_e32 v32, 0xbf27a4f4, v100
	v_add_f32_e32 v30, v37, v30
	v_fma_f32 v37, 0x3ed4b147, v102, -v34
	v_add_f32_e32 v20, v32, v20
	;; [unrolled: 4-line block ×3, first 2 shown]
	v_fmac_f32_e32 v36, 0xbe11bafb, v112
	v_add_f32_e32 v82, v37, v30
	v_mul_f32_e32 v30, 0x3f0a6770, v31
	v_fmamk_f32 v31, v115, 0xbf75a155, v29
	v_add_f32_e32 v88, v36, v20
	v_fma_f32 v20, 0xbf75a155, v115, -v29
	v_fmamk_f32 v37, v118, 0x3f575c64, v30
	v_add_f32_e32 v31, v1, v31
	v_fma_f32 v21, 0x3f575c64, v118, -v30
	v_add_f32_e32 v20, v1, v20
	v_add_f32_e32 v31, v37, v31
	v_fmamk_f32 v37, v101, 0xbf27a4f4, v33
	v_add_f32_e32 v20, v21, v20
	v_fma_f32 v21, 0xbf27a4f4, v101, -v33
	v_add_f32_e32 v31, v37, v31
	v_fmamk_f32 v37, v103, 0x3ed4b147, v35
	v_add_f32_e32 v20, v21, v20
	v_fma_f32 v21, 0x3ed4b147, v103, -v35
	;; [unrolled: 4-line block ×3, first 2 shown]
	v_add_f32_e32 v83, v37, v31
	buffer_store_dword v80, off, s[20:23], 0 offset:36 ; 4-byte Folded Spill
	buffer_store_dword v81, off, s[20:23], 0 offset:40 ; 4-byte Folded Spill
	;; [unrolled: 1-line block ×4, first 2 shown]
	v_add_f32_e32 v89, v21, v20
	buffer_store_dword v88, off, s[20:23], 0 offset:52 ; 4-byte Folded Spill
	buffer_store_dword v89, off, s[20:23], 0 offset:56 ; 4-byte Folded Spill
	;; [unrolled: 1-line block ×5, first 2 shown]
	ds_write_b64 v123, v[2:3] offset:560
	s_and_saveexec_b32 s0, vcc_lo
	s_cbranch_execz .LBB0_5
; %bb.4:
	v_add_f32_e32 v26, v1, v26
	v_add_f32_e32 v6, v0, v6
	v_mul_f32_e32 v3, 0x3f575c64, v115
	v_mul_f32_e32 v2, 0x3f575c64, v96
	;; [unrolled: 1-line block ×3, first 2 shown]
	v_add_f32_e32 v9, v26, v9
	v_add_f32_e32 v6, v6, v7
	;; [unrolled: 1-line block ×3, first 2 shown]
	v_sub_f32_e32 v2, v2, v27
	v_mul_f32_e32 v21, 0x3ed4b147, v118
	v_add_f32_e32 v9, v9, v12
	v_add_f32_e32 v6, v6, v10
	v_add_f32_e32 v1, v1, v3
	v_add_f32_e32 v0, v0, v2
	v_sub_f32_e32 v2, v20, v70
	v_add_f32_e32 v3, v9, v13
	v_add_f32_e32 v6, v6, v11
	v_mul_f32_e32 v29, 0xbe11bafb, v101
	v_add_f32_e32 v9, v85, v21
	v_add_f32_e32 v0, v2, v0
	v_add_f32_e32 v3, v3, v16
	v_add_f32_e32 v6, v6, v14
	v_mul_f32_e32 v7, 0xbf27a4f4, v103
	v_add_f32_e32 v1, v9, v1
	v_add_f32_e32 v9, v97, v29
	;; [unrolled: 5-line block ×3, first 2 shown]
	v_add_f32_e32 v2, v2, v92
	v_add_f32_e32 v3, v3, v18
	v_mul_f32_e32 v28, 0xbe11bafb, v100
	v_mul_f32_e32 v30, 0xbf27a4f4, v102
	v_add_f32_e32 v1, v7, v1
	v_add_f32_e32 v2, v2, v93
	;; [unrolled: 1-line block ×4, first 2 shown]
	v_sub_f32_e32 v6, v28, v71
	v_mul_f32_e32 v26, 0xbf75a155, v112
	v_add_f32_e32 v2, v2, v95
	v_add_f32_e32 v9, v3, v94
	buffer_load_dword v3, off, s[20:23], 0 offset:368 ; 4-byte Folded Reload
	v_add_f32_e32 v0, v6, v0
	v_sub_f32_e32 v6, v30, v84
	v_add_f32_e32 v1, v7, v1
	v_add_f32_e32 v0, v6, v0
	v_sub_f32_e32 v6, v26, v87
	v_add_f32_e32 v0, v6, v0
	s_waitcnt vmcnt(0)
	v_mul_u32_u24_sdwa v10, v3, v164 dst_sel:DWORD dst_unused:UNUSED_PAD src0_sel:WORD_0 src1_sel:DWORD
	v_add_f32_e32 v3, v2, v5
	v_add_f32_e32 v2, v9, v4
	buffer_load_dword v4, off, s[20:23], 0 offset:364 ; 4-byte Folded Reload
	s_waitcnt vmcnt(0)
	v_add_lshl_u32 v4, v10, v4, 3
	ds_write2_b64 v4, v[2:3], v[0:1] offset1:7
	s_clause 0x3
	buffer_load_dword v0, off, s[20:23], 0 offset:4
	buffer_load_dword v1, off, s[20:23], 0 offset:8
	buffer_load_dword v2, off, s[20:23], 0 offset:12
	buffer_load_dword v3, off, s[20:23], 0 offset:16
	s_waitcnt vmcnt(0)
	ds_write2_b64 v4, v[0:1], v[2:3] offset0:14 offset1:21
	s_clause 0x3
	buffer_load_dword v0, off, s[20:23], 0 offset:36
	buffer_load_dword v1, off, s[20:23], 0 offset:40
	buffer_load_dword v2, off, s[20:23], 0 offset:44
	buffer_load_dword v3, off, s[20:23], 0 offset:48
	s_waitcnt vmcnt(0)
	ds_write2_b64 v4, v[0:1], v[2:3] offset0:28 offset1:35
	;; [unrolled: 7-line block ×4, first 2 shown]
	s_clause 0x1
	buffer_load_dword v0, off, s[20:23], 0 offset:68
	buffer_load_dword v1, off, s[20:23], 0 offset:72
	s_waitcnt vmcnt(0)
	ds_write_b64 v4, v[0:1] offset:560
.LBB0_5:
	s_or_b32 exec_lo, exec_lo, s0
	buffer_load_dword v69, off, s[20:23], 0 ; 4-byte Folded Reload
	s_waitcnt vmcnt(0) lgkmcnt(0)
	s_waitcnt_vscnt null, 0x0
	s_barrier
	buffer_gl0_inv
	v_mul_lo_u16 v7, 0xd5, v8
	v_mov_b32_e32 v8, 0x1a99
	v_mul_lo_u16 v18, 0xd5, v117
	v_add_nc_u32_e32 v9, 0x800, v68
	v_add_nc_u32_e32 v12, 0x1800, v68
	v_lshrrev_b16 v7, 14, v7
	v_mul_u32_u24_sdwa v19, v234, v8 dst_sel:DWORD dst_unused:UNUSED_PAD src0_sel:WORD_0 src1_sel:DWORD
	v_lshrrev_b16 v217, 14, v18
	v_add_nc_u32_e32 v13, 0x2000, v68
	v_add_nc_u32_e32 v109, 0x3000, v68
	v_mul_lo_u16 v7, 0x4d, v7
	v_lshrrev_b32_e32 v215, 19, v19
	v_mul_lo_u16 v18, 0x4d, v217
	v_mov_b32_e32 v20, 5
	v_add_nc_u32_e32 v110, 0x1000, v68
	v_sub_nc_u16 v71, v233, v7
	v_add_nc_u32_e32 v14, 0x2800, v68
	v_sub_nc_u16 v27, v212, v18
	v_add_nc_u32_e32 v111, 0x400, v68
	v_add_nc_u32_e32 v10, 0x1c00, v68
	v_lshlrev_b32_sdwa v20, v20, v71 dst_sel:DWORD dst_unused:UNUSED_PAD src0_sel:DWORD src1_sel:BYTE_0
	v_add_nc_u32_e32 v15, 0x3400, v68
	v_and_b32_e32 v218, 0xff, v27
	v_add_co_u32 v0, s0, 0xffffffea, v69
	v_add_co_ci_u32_e64 v1, null, 0, -1, s0
	v_cmp_gt_u16_e64 s0, 22, v69
	v_lshlrev_b32_e32 v17, 5, v69
	s_clause 0x1
	global_load_dwordx4 v[100:103], v17, s[10:11] offset:560
	global_load_dwordx4 v[96:99], v17, s[10:11] offset:576
	v_cndmask_b32_e64 v1, v1, v116, s0
	v_cndmask_b32_e64 v0, v0, v213, s0
	v_add_co_u32 v16, null, 0x113, v69
	v_add_co_u32 v11, null, 0x14a, v69
	v_lshlrev_b64 v[1:2], 5, v[0:1]
	v_mul_u32_u24_sdwa v21, v16, v8 dst_sel:DWORD dst_unused:UNUSED_PAD src0_sel:WORD_0 src1_sel:DWORD
	v_mul_u32_u24_sdwa v8, v11, v8 dst_sel:DWORD dst_unused:UNUSED_PAD src0_sel:WORD_0 src1_sel:DWORD
	v_add_co_u32 v1, s0, s10, v1
	v_add_co_ci_u32_e64 v2, s0, s11, v2, s0
	s_clause 0x1
	global_load_dwordx4 v[92:95], v[1:2], off offset:560
	global_load_dwordx4 v[84:87], v[1:2], off offset:576
	v_lshrrev_b32_e32 v19, 19, v21
	v_mul_lo_u16 v21, 0x4d, v215
	v_lshrrev_b32_e32 v8, 19, v8
	ds_read2_b64 v[160:163], v68 offset1:55
	ds_read_b64 v[1:2], v68 offset:14960
	ds_read2_b64 v[152:155], v9 offset0:74 offset1:129
	ds_read2_b64 v[3:6], v12 offset0:2 offset1:57
	;; [unrolled: 1-line block ×4, first 2 shown]
	v_mul_lo_u16 v26, 0x4d, v19
	v_sub_nc_u16 v216, v234, v21
	v_mul_lo_u16 v8, 0x4d, v8
	global_load_dwordx4 v[136:139], v20, s[10:11] offset:560
	v_sub_nc_u16 v214, v16, v26
	v_lshlrev_b16 v7, 5, v216
	v_sub_nc_u16 v18, v11, v8
	v_lshlrev_b32_e32 v26, 5, v218
	s_clause 0x1
	global_load_dwordx4 v[144:147], v26, s[10:11] offset:560
	global_load_dwordx4 v[140:143], v26, s[10:11] offset:576
	v_lshlrev_b16 v8, 5, v214
	v_and_b32_e32 v7, 0xffff, v7
	v_lshlrev_b16 v21, 5, v18
	v_mad_u16 v19, 0x181, v19, v214
	v_and_b32_e32 v27, 0xffff, v8
	v_add_co_u32 v7, s0, s10, v7
	v_and_b32_e32 v21, 0xffff, v21
	v_add_co_ci_u32_e64 v8, null, s11, 0, s0
	v_add_co_u32 v112, s0, s10, v27
	v_add_co_ci_u32_e64 v113, null, s11, 0, s0
	v_add_co_u32 v148, s0, s10, v21
	s_clause 0x3
	global_load_dwordx4 v[128:131], v[7:8], off offset:560
	global_load_dwordx4 v[124:127], v[7:8], off offset:576
	;; [unrolled: 1-line block ×4, first 2 shown]
	v_add_co_ci_u32_e64 v149, null, s11, 0, s0
	v_cmp_lt_u16_e64 s0, 21, v69
	s_waitcnt vmcnt(10) lgkmcnt(3)
	v_mul_f32_e32 v7, v155, v101
	s_waitcnt lgkmcnt(2)
	v_mul_f32_e32 v8, v4, v103
	s_waitcnt vmcnt(9) lgkmcnt(1)
	v_mul_f32_e32 v21, v159, v97
	s_waitcnt lgkmcnt(0)
	v_mul_f32_e32 v26, v117, v99
	v_mul_f32_e32 v225, v154, v101
	v_fma_f32 v229, v154, v100, -v7
	v_fma_f32 v230, v3, v102, -v8
	;; [unrolled: 1-line block ×4, first 2 shown]
	v_mul_f32_e32 v228, v116, v99
	v_mul_f32_e32 v227, v158, v97
	v_sub_f32_e32 v7, v229, v230
	v_mul_f32_e32 v226, v3, v103
	v_sub_f32_e32 v8, v237, v231
	v_fmac_f32_e32 v228, v117, v98
	v_fmac_f32_e32 v227, v159, v96
	;; [unrolled: 1-line block ×4, first 2 shown]
	v_add_f32_e32 v223, v7, v8
	v_add_f32_e32 v3, v160, v229
	;; [unrolled: 1-line block ×3, first 2 shown]
	s_waitcnt vmcnt(7)
	v_mul_f32_e32 v8, v119, v87
	v_mul_f32_e32 v154, v118, v87
	v_add_f32_e32 v26, v226, v227
	v_add_f32_e32 v21, v161, v225
	v_sub_f32_e32 v219, v225, v228
	v_fma_f32 v158, v118, v86, -v8
	v_fmac_f32_e32 v154, v119, v86
	s_clause 0x2
	global_load_dwordx4 v[132:135], v[148:149], off offset:560
	global_load_dwordx4 v[116:119], v[148:149], off offset:576
	global_load_dwordx4 v[148:151], v20, s[10:11] offset:576
	v_sub_f32_e32 v221, v229, v237
	v_add_f32_e32 v29, v3, v230
	v_fma_f32 v3, -0.5, v4, v160
	v_fma_f32 v4, -0.5, v26, v161
	v_mul_f32_e32 v7, v6, v95
	v_mul_f32_e32 v155, v5, v95
	v_sub_f32_e32 v27, v225, v226
	v_sub_f32_e32 v28, v228, v227
	;; [unrolled: 1-line block ×4, first 2 shown]
	v_add_f32_e32 v21, v21, v226
	v_fma_f32 v159, v5, v94, -v7
	v_fmac_f32_e32 v155, v6, v94
	v_fmamk_f32 v5, v219, 0x3f737871, v3
	v_fmamk_f32 v6, v221, 0xbf737871, v4
	v_add_f32_e32 v224, v27, v28
	v_add_f32_e32 v26, v29, v231
	;; [unrolled: 1-line block ×3, first 2 shown]
	v_fmac_f32_e32 v5, 0x3f167918, v220
	v_fmac_f32_e32 v6, 0xbf167918, v222
	ds_read2_b64 v[192:195], v68 offset0:110 offset1:165
	ds_read2_b64 v[208:211], v9 offset0:184 offset1:239
	;; [unrolled: 1-line block ×12, first 2 shown]
	v_add_f32_e32 v7, v26, v237
	v_add_f32_e32 v8, v21, v228
	v_fmac_f32_e32 v5, 0x3e9e377a, v223
	v_fmac_f32_e32 v6, 0x3e9e377a, v224
	s_waitcnt vmcnt(0) lgkmcnt(0)
	s_barrier
	buffer_gl0_inv
	v_add_f32_e32 v20, v225, v228
	ds_write2_b64 v68, v[7:8], v[5:6] offset1:77
	v_sub_f32_e32 v5, v230, v229
	v_sub_f32_e32 v6, v231, v237
	v_add_f32_e32 v7, v229, v237
	v_sub_f32_e32 v8, v226, v225
	v_sub_f32_e32 v21, v227, v228
	v_fmac_f32_e32 v3, 0xbf737871, v219
	v_add_f32_e32 v26, v5, v6
	v_fma_f32 v5, -0.5, v7, v160
	v_fma_f32 v6, -0.5, v20, v161
	v_add_f32_e32 v20, v8, v21
	v_fmac_f32_e32 v4, 0x3f737871, v221
	v_fmac_f32_e32 v3, 0xbf167918, v220
	v_fmamk_f32 v7, v220, 0xbf737871, v5
	v_fmac_f32_e32 v5, 0x3f737871, v220
	v_fmamk_f32 v8, v222, 0x3f737871, v6
	v_fmac_f32_e32 v6, 0xbf737871, v222
	v_fmac_f32_e32 v4, 0x3f167918, v222
	v_fmac_f32_e32 v7, 0x3f167918, v219
	v_fmac_f32_e32 v5, 0xbf167918, v219
	v_fmac_f32_e32 v8, 0xbf167918, v221
	v_fmac_f32_e32 v6, 0x3f167918, v221
	v_fmac_f32_e32 v3, 0x3e9e377a, v223
	v_fmac_f32_e32 v7, 0x3e9e377a, v26
	v_fmac_f32_e32 v5, 0x3e9e377a, v26
	v_fmac_f32_e32 v8, 0x3e9e377a, v20
	v_fmac_f32_e32 v6, 0x3e9e377a, v20
	v_fmac_f32_e32 v4, 0x3e9e377a, v224
	v_mul_f32_e32 v20, v200, v85
	v_mul_f32_e32 v21, v208, v93
	;; [unrolled: 1-line block ×3, first 2 shown]
	ds_write2_b64 v68, v[7:8], v[5:6] offset0:154 offset1:231
	v_cndmask_b32_e64 v5, 0, 0x181, s0
	ds_write_b64 v68, v[3:4] offset:2464
	v_mul_f32_e32 v3, v209, v93
	v_fmac_f32_e32 v20, v201, v84
	v_fmac_f32_e32 v21, v209, v92
	v_add_lshl_u32 v80, v0, v5, 3
	v_mul_f32_e32 v0, v201, v85
	v_fma_f32 v7, v208, v92, -v3
	v_sub_f32_e32 v27, v20, v154
	v_add_f32_e32 v26, v163, v21
	v_sub_f32_e32 v28, v155, v20
	v_fma_f32 v0, v200, v84, -v0
	v_add_f32_e32 v4, v7, v158
	v_add_f32_e32 v8, v162, v7
	v_sub_f32_e32 v29, v21, v154
	v_sub_f32_e32 v31, v7, v158
	v_add_f32_e32 v3, v159, v0
	v_sub_f32_e32 v5, v0, v158
	v_sub_f32_e32 v30, v159, v0
	v_mul_f32_e32 v36, v204, v147
	v_mul_f32_e32 v38, v202, v141
	v_fma_f32 v3, -0.5, v3, v162
	v_fma_f32 v162, -0.5, v4, v162
	v_sub_f32_e32 v4, v159, v7
	v_sub_f32_e32 v7, v7, v159
	v_mul_f32_e32 v161, v196, v143
	v_fmac_f32_e32 v32, v211, v144
	v_fmac_f32_e32 v36, v205, v146
	v_add_f32_e32 v6, v4, v5
	v_add_f32_e32 v4, v155, v20
	;; [unrolled: 1-line block ×3, first 2 shown]
	v_fmac_f32_e32 v38, v203, v140
	v_fmac_f32_e32 v161, v197, v142
	buffer_store_dword v80, off, s[20:23], 0 offset:480 ; 4-byte Folded Spill
	v_fma_f32 v4, -0.5, v4, v163
	v_fmac_f32_e32 v163, -0.5, v5
	v_sub_f32_e32 v5, v155, v21
	v_mul_f32_e32 v34, v206, v139
	v_add_f32_e32 v27, v5, v27
	v_fmamk_f32 v5, v28, 0xbf737871, v162
	v_fmac_f32_e32 v162, 0x3f737871, v28
	v_fmac_f32_e32 v34, v207, v138
	;; [unrolled: 1-line block ×6, first 2 shown]
	v_fmamk_f32 v6, v30, 0x3f737871, v163
	v_fmac_f32_e32 v163, 0xbf737871, v30
	v_fmac_f32_e32 v6, 0xbf167918, v31
	v_fmac_f32_e32 v163, 0x3f167918, v31
	v_fmac_f32_e32 v6, 0x3e9e377a, v27
	v_fmac_f32_e32 v163, 0x3e9e377a, v27
	ds_write2_b64 v80, v[5:6], v[162:163] offset0:154 offset1:231
	v_mul_f32_e32 v5, v211, v145
	v_add_f32_e32 v6, v26, v155
	v_fma_f32 v27, v210, v144, -v5
	v_mul_f32_e32 v5, v207, v139
	v_add_f32_e32 v6, v6, v20
	v_sub_f32_e32 v20, v154, v20
	v_fma_f32 v33, v206, v138, -v5
	v_mul_f32_e32 v5, v205, v147
	v_add_f32_e32 v6, v6, v154
	v_fma_f32 v35, v204, v146, -v5
	v_mul_f32_e32 v5, v203, v141
	v_fma_f32 v37, v202, v140, -v5
	v_mul_f32_e32 v5, v199, v151
	v_mul_f32_e32 v70, v198, v151
	v_fma_f32 v39, v198, v150, -v5
	v_mul_f32_e32 v5, v197, v143
	v_fmac_f32_e32 v70, v199, v150
	v_fma_f32 v160, v196, v142, -v5
	v_add_f32_e32 v5, v8, v159
	v_sub_f32_e32 v8, v21, v155
	v_sub_f32_e32 v21, v32, v161
	;; [unrolled: 1-line block ×3, first 2 shown]
	v_add_f32_e32 v5, v5, v0
	v_sub_f32_e32 v0, v158, v0
	v_add_f32_e32 v20, v8, v20
	v_fmamk_f32 v8, v31, 0xbf737871, v4
	v_fmac_f32_e32 v4, 0x3f737871, v31
	v_add_f32_e32 v5, v5, v158
	v_add_f32_e32 v0, v7, v0
	v_fmamk_f32 v7, v29, 0x3f737871, v3
	v_fmac_f32_e32 v3, 0xbf737871, v29
	v_fmac_f32_e32 v8, 0xbf167918, v30
	;; [unrolled: 1-line block ×3, first 2 shown]
	v_sub_f32_e32 v29, v35, v37
	v_fmac_f32_e32 v7, 0x3f167918, v28
	v_fmac_f32_e32 v3, 0xbf167918, v28
	v_fmac_f32_e32 v8, 0x3e9e377a, v20
	v_fmac_f32_e32 v4, 0x3e9e377a, v20
	v_sub_f32_e32 v28, v36, v38
	v_fmac_f32_e32 v7, 0x3e9e377a, v0
	v_fmac_f32_e32 v3, 0x3e9e377a, v0
	v_mov_b32_e32 v0, 0x181
	v_sub_f32_e32 v30, v38, v161
	ds_write2_b64 v80, v[5:6], v[7:8] offset1:77
	ds_write_b64 v80, v[3:4] offset:2464
	v_mul_u32_u24_sdwa v0, v217, v0 dst_sel:DWORD dst_unused:UNUSED_PAD src0_sel:WORD_0 src1_sel:DWORD
	v_sub_f32_e32 v3, v160, v37
	v_add_f32_e32 v4, v36, v38
	v_sub_f32_e32 v5, v32, v36
	v_sub_f32_e32 v6, v161, v38
	v_add_lshl_u32 v80, v0, v218, 3
	v_sub_f32_e32 v0, v27, v35
	v_fma_f32 v4, -0.5, v4, v193
	v_add_f32_e32 v20, v5, v6
	v_add_f32_e32 v5, v192, v27
	;; [unrolled: 1-line block ×5, first 2 shown]
	v_fmamk_f32 v8, v26, 0xbf737871, v4
	v_add_f32_e32 v5, v5, v35
	v_fmac_f32_e32 v4, 0x3f737871, v26
	v_fma_f32 v3, -0.5, v3, v192
	v_add_f32_e32 v6, v6, v36
	v_fmac_f32_e32 v8, 0xbf167918, v29
	v_add_f32_e32 v5, v5, v37
	v_fmac_f32_e32 v4, 0x3f167918, v29
	v_fmamk_f32 v7, v21, 0x3f737871, v3
	v_add_f32_e32 v6, v6, v38
	v_fmac_f32_e32 v8, 0x3e9e377a, v20
	v_add_f32_e32 v5, v5, v160
	v_fmac_f32_e32 v3, 0xbf737871, v21
	v_fmac_f32_e32 v7, 0x3f167918, v28
	v_add_f32_e32 v6, v6, v161
	v_fmac_f32_e32 v4, 0x3e9e377a, v20
	v_mul_f32_e32 v20, v184, v149
	v_fmac_f32_e32 v3, 0xbf167918, v28
	v_fmac_f32_e32 v7, 0x3e9e377a, v0
	buffer_store_dword v80, off, s[20:23], 0 offset:484 ; 4-byte Folded Spill
	v_fmac_f32_e32 v20, v185, v148
	v_fmac_f32_e32 v3, 0x3e9e377a, v0
	ds_write2_b64 v80, v[5:6], v[7:8] offset1:77
	v_sub_f32_e32 v5, v35, v27
	v_sub_f32_e32 v6, v37, v160
	v_add_f32_e32 v7, v27, v160
	v_add_f32_e32 v27, v32, v161
	v_sub_f32_e32 v8, v36, v32
	ds_write_b64 v80, v[3:4] offset:2464
	v_add_f32_e32 v31, v5, v6
	v_fma_f32 v5, -0.5, v7, v192
	v_fma_f32 v6, -0.5, v27, v193
	v_add_f32_e32 v27, v8, v30
	v_mul_f32_e32 v0, v185, v149
	v_mul_f32_e32 v3, v189, v137
	v_fmamk_f32 v7, v28, 0xbf737871, v5
	v_fmac_f32_e32 v5, 0x3f737871, v28
	v_fmamk_f32 v8, v29, 0x3f737871, v6
	v_fmac_f32_e32 v6, 0xbf737871, v29
	v_fma_f32 v0, v184, v148, -v0
	v_fmac_f32_e32 v7, 0x3f167918, v21
	v_fmac_f32_e32 v5, 0xbf167918, v21
	v_fmac_f32_e32 v8, 0xbf167918, v26
	v_fmac_f32_e32 v6, 0x3f167918, v26
	v_mul_f32_e32 v21, v188, v137
	v_fmac_f32_e32 v7, 0x3e9e377a, v31
	v_fmac_f32_e32 v5, 0x3e9e377a, v31
	;; [unrolled: 1-line block ×5, first 2 shown]
	v_sub_f32_e32 v27, v20, v70
	v_sub_f32_e32 v28, v34, v20
	;; [unrolled: 1-line block ×3, first 2 shown]
	ds_write2_b64 v80, v[7:8], v[5:6] offset0:154 offset1:231
	v_fma_f32 v7, v188, v136, -v3
	v_add_f32_e32 v3, v33, v0
	v_sub_f32_e32 v5, v0, v39
	v_add_f32_e32 v26, v195, v21
	v_sub_f32_e32 v29, v21, v70
	v_add_f32_e32 v4, v7, v39
	v_add_f32_e32 v8, v194, v7
	v_fma_f32 v3, -0.5, v3, v194
	v_sub_f32_e32 v31, v7, v39
	v_mul_f32_e32 v35, v180, v131
	v_fma_f32 v194, -0.5, v4, v194
	v_sub_f32_e32 v4, v33, v7
	v_sub_f32_e32 v7, v7, v33
	v_mul_f32_e32 v37, v182, v123
	v_fmac_f32_e32 v35, v181, v130
	v_add_f32_e32 v6, v4, v5
	v_add_f32_e32 v4, v34, v20
	v_add_f32_e32 v5, v21, v70
	v_fmac_f32_e32 v37, v183, v122
	v_fma_f32 v4, -0.5, v4, v195
	v_fmac_f32_e32 v195, -0.5, v5
	v_sub_f32_e32 v5, v34, v21
	v_add_f32_e32 v27, v5, v27
	v_fmamk_f32 v5, v28, 0xbf737871, v194
	v_fmac_f32_e32 v194, 0x3f737871, v28
	v_fmac_f32_e32 v5, 0x3f167918, v29
	;; [unrolled: 1-line block ×5, first 2 shown]
	v_fmamk_f32 v6, v30, 0x3f737871, v195
	v_fmac_f32_e32 v195, 0xbf737871, v30
	v_fmac_f32_e32 v6, 0xbf167918, v31
	;; [unrolled: 1-line block ×5, first 2 shown]
	v_mov_b32_e32 v27, 3
	v_lshlrev_b32_sdwa v80, v27, v71 dst_sel:DWORD dst_unused:UNUSED_PAD src0_sel:DWORD src1_sel:BYTE_0
	v_mul_f32_e32 v71, v178, v115
	v_add_nc_u32_e32 v32, 0x1800, v80
	buffer_store_dword v80, off, s[20:23], 0 offset:488 ; 4-byte Folded Spill
	v_fmac_f32_e32 v71, v179, v114
	ds_write2_b64 v32, v[5:6], v[194:195] offset0:156 offset1:233
	v_add_f32_e32 v5, v8, v33
	v_add_f32_e32 v6, v26, v34
	v_sub_f32_e32 v8, v21, v34
	v_mul_f32_e32 v33, v186, v125
	v_mul_f32_e32 v26, v190, v129
	v_add_f32_e32 v5, v5, v0
	v_add_f32_e32 v6, v6, v20
	v_sub_f32_e32 v0, v39, v0
	v_sub_f32_e32 v20, v70, v20
	v_fmac_f32_e32 v33, v187, v124
	v_add_f32_e32 v5, v5, v39
	v_add_f32_e32 v6, v6, v70
	;; [unrolled: 1-line block ×4, first 2 shown]
	v_fmamk_f32 v7, v29, 0x3f737871, v3
	v_fmamk_f32 v8, v31, 0xbf737871, v4
	v_fmac_f32_e32 v3, 0xbf737871, v29
	v_fmac_f32_e32 v4, 0x3f737871, v31
	v_mul_f32_e32 v39, v176, v127
	v_fmac_f32_e32 v7, 0x3f167918, v28
	v_fmac_f32_e32 v8, 0xbf167918, v30
	;; [unrolled: 1-line block ×10, first 2 shown]
	v_sub_f32_e32 v30, v35, v33
	ds_write2_b64 v32, v[5:6], v[7:8] offset0:2 offset1:79
	v_mul_f32_e32 v5, v191, v129
	ds_write_b64 v80, v[3:4] offset:8624
	v_add_f32_e32 v4, v35, v33
	v_add_f32_e32 v6, v173, v26
	v_sub_f32_e32 v7, v26, v35
	v_fma_f32 v21, v190, v128, -v5
	v_mul_f32_e32 v5, v187, v125
	v_fma_f32 v4, -0.5, v4, v173
	v_sub_f32_e32 v8, v39, v33
	v_sub_f32_e32 v29, v26, v39
	v_add_f32_e32 v6, v6, v35
	v_fma_f32 v32, v186, v124, -v5
	v_mul_f32_e32 v5, v181, v131
	v_add_f32_e32 v20, v7, v8
	v_mad_u16 v28, 0x181, v215, v216
	v_add_f32_e32 v6, v6, v33
	v_fma_f32 v34, v180, v130, -v5
	v_mul_f32_e32 v5, v183, v123
	v_lshlrev_b32_sdwa v80, v27, v28 dst_sel:DWORD dst_unused:UNUSED_PAD src0_sel:DWORD src1_sel:WORD_0
	v_add_f32_e32 v6, v6, v39
	v_mul_f32_e32 v28, v169, v121
	v_sub_f32_e32 v0, v21, v34
	v_fma_f32 v36, v182, v122, -v5
	v_mul_f32_e32 v5, v177, v127
	v_sub_f32_e32 v154, v34, v32
	buffer_store_dword v80, off, s[20:23], 0 offset:492 ; 4-byte Folded Spill
	v_fma_f32 v38, v176, v126, -v5
	v_mul_f32_e32 v5, v179, v115
	v_sub_f32_e32 v3, v38, v32
	v_fma_f32 v70, v178, v114, -v5
	v_add_f32_e32 v5, v172, v21
	v_sub_f32_e32 v31, v21, v38
	v_add_f32_e32 v0, v0, v3
	v_add_f32_e32 v3, v34, v32
	;; [unrolled: 1-line block ×3, first 2 shown]
	v_fmamk_f32 v8, v31, 0xbf737871, v4
	v_fmac_f32_e32 v4, 0x3f737871, v31
	v_fma_f32 v3, -0.5, v3, v172
	v_add_f32_e32 v5, v5, v32
	v_fmac_f32_e32 v8, 0xbf167918, v154
	v_fmac_f32_e32 v4, 0x3f167918, v154
	v_fmamk_f32 v7, v29, 0x3f737871, v3
	v_add_f32_e32 v5, v5, v38
	v_fmac_f32_e32 v8, 0x3e9e377a, v20
	v_fmac_f32_e32 v3, 0xbf737871, v29
	;; [unrolled: 1-line block ×4, first 2 shown]
	v_mul_f32_e32 v20, v168, v121
	v_fmac_f32_e32 v3, 0xbf167918, v30
	v_fmac_f32_e32 v7, 0x3e9e377a, v0
	;; [unrolled: 1-line block ×4, first 2 shown]
	v_fma_f32 v0, v168, v120, -v28
	ds_write2_b64 v80, v[5:6], v[7:8] offset1:77
	v_sub_f32_e32 v5, v34, v21
	v_sub_f32_e32 v6, v32, v38
	v_add_f32_e32 v7, v21, v38
	v_sub_f32_e32 v21, v35, v26
	ds_write_b64 v80, v[3:4] offset:2464
	v_sub_f32_e32 v4, v36, v0
	v_add_f32_e32 v8, v5, v6
	v_fma_f32 v5, -0.5, v7, v172
	v_add_f32_e32 v6, v26, v39
	v_sub_f32_e32 v26, v33, v39
	v_sub_f32_e32 v32, v0, v70
	v_mul_f32_e32 v33, v156, v135
	v_fmamk_f32 v7, v30, 0xbf737871, v5
	v_fmac_f32_e32 v5, 0x3f737871, v30
	v_fma_f32 v6, -0.5, v6, v173
	v_add_f32_e32 v21, v21, v26
	v_mul_f32_e32 v26, v165, v113
	v_fmac_f32_e32 v7, 0x3f167918, v29
	v_fmac_f32_e32 v5, 0xbf167918, v29
	v_sub_f32_e32 v29, v20, v71
	v_mul_f32_e32 v35, v166, v117
	v_fmac_f32_e32 v33, v157, v134
	v_fmac_f32_e32 v7, 0x3e9e377a, v8
	;; [unrolled: 1-line block ×3, first 2 shown]
	v_fmamk_f32 v8, v154, 0x3f737871, v6
	v_fmac_f32_e32 v6, 0xbf737871, v154
	v_fmac_f32_e32 v35, v167, v116
	;; [unrolled: 1-line block ×6, first 2 shown]
	v_fma_f32 v21, v164, v112, -v26
	ds_write2_b64 v80, v[7:8], v[5:6] offset0:154 offset1:231
	v_mul_f32_e32 v8, v164, v113
	v_add_f32_e32 v5, v36, v21
	v_add_f32_e32 v6, v0, v70
	v_add_f32_e32 v7, v174, v0
	v_sub_f32_e32 v31, v36, v21
	v_fmac_f32_e32 v8, v165, v112
	v_fma_f32 v3, -0.5, v5, v174
	v_fma_f32 v174, -0.5, v6, v174
	v_sub_f32_e32 v5, v21, v70
	v_lshlrev_b32_sdwa v80, v27, v19 dst_sel:DWORD dst_unused:UNUSED_PAD src0_sel:DWORD src1_sel:WORD_0
	v_sub_f32_e32 v26, v37, v8
	v_add_f32_e32 v6, v37, v8
	v_sub_f32_e32 v30, v8, v71
	v_add_f32_e32 v28, v4, v5
	v_sub_f32_e32 v0, v0, v36
	v_fmamk_f32 v5, v26, 0xbf737871, v174
	v_fmac_f32_e32 v174, 0x3f737871, v26
	v_fma_f32 v4, -0.5, v6, v175
	v_add_f32_e32 v6, v20, v71
	v_mul_f32_e32 v19, v170, v133
	v_fmac_f32_e32 v5, 0x3f167918, v29
	v_fmac_f32_e32 v174, 0xbf167918, v29
	buffer_store_dword v80, off, s[20:23], 0 offset:496 ; 4-byte Folded Spill
	v_fmac_f32_e32 v19, v171, v132
	v_fmac_f32_e32 v5, 0x3e9e377a, v28
	;; [unrolled: 1-line block ×3, first 2 shown]
	v_add_f32_e32 v28, v175, v20
	v_fmac_f32_e32 v175, -0.5, v6
	v_sub_f32_e32 v6, v37, v20
	v_sub_f32_e32 v20, v20, v37
	v_add_f32_e32 v30, v6, v30
	v_fmamk_f32 v6, v31, 0x3f737871, v175
	v_fmac_f32_e32 v175, 0xbf737871, v31
	v_fmac_f32_e32 v6, 0xbf167918, v32
	v_fmac_f32_e32 v175, 0x3f167918, v32
	v_fmac_f32_e32 v6, 0x3e9e377a, v30
	v_fmac_f32_e32 v175, 0x3e9e377a, v30
	ds_write2_b64 v80, v[5:6], v[174:175] offset0:154 offset1:231
	v_mul_f32_e32 v5, v171, v133
	v_mul_f32_e32 v6, v157, v135
	v_fma_f32 v30, v170, v132, -v5
	v_mul_f32_e32 v5, v167, v117
	v_fma_f32 v34, v156, v134, -v6
	v_add_f32_e32 v6, v7, v36
	v_sub_f32_e32 v36, v71, v8
	v_fma_f32 v38, v166, v116, -v5
	v_add_f32_e32 v5, v28, v37
	v_add_f32_e32 v6, v6, v21
	v_sub_f32_e32 v21, v70, v21
	v_add_f32_e32 v20, v20, v36
	v_sub_f32_e32 v36, v33, v19
	v_add_f32_e32 v28, v5, v8
	v_fmamk_f32 v5, v29, 0x3f737871, v3
	v_add_f32_e32 v0, v0, v21
	v_mul_f32_e32 v21, v2, v119
	v_fmac_f32_e32 v3, 0xbf737871, v29
	v_add_f32_e32 v8, v28, v71
	v_mul_f32_e32 v28, v1, v119
	v_add_f32_e32 v7, v6, v70
	v_fma_f32 v21, v1, v118, -v21
	v_fmamk_f32 v6, v32, 0xbf737871, v4
	v_fmac_f32_e32 v5, 0x3f167918, v26
	v_fmac_f32_e32 v4, 0x3f737871, v32
	;; [unrolled: 1-line block ×4, first 2 shown]
	v_add_f32_e32 v1, v34, v38
	v_add_f32_e32 v2, v30, v21
	v_fmac_f32_e32 v6, 0xbf167918, v31
	v_fmac_f32_e32 v5, 0x3e9e377a, v0
	;; [unrolled: 1-line block ×4, first 2 shown]
	v_add_f32_e32 v26, v152, v30
	v_fma_f32 v0, -0.5, v1, v152
	v_fma_f32 v152, -0.5, v2, v152
	v_sub_f32_e32 v2, v34, v30
	v_sub_f32_e32 v29, v38, v21
	v_sub_f32_e32 v31, v33, v35
	v_add_f32_e32 v1, v33, v35
	v_add_f32_e32 v32, v153, v19
	v_sub_f32_e32 v37, v35, v28
	v_add_f32_e32 v2, v2, v29
	v_fmamk_f32 v154, v31, 0xbf737871, v152
	v_sub_f32_e32 v29, v19, v28
	v_fmac_f32_e32 v152, 0x3f737871, v31
	v_fmac_f32_e32 v6, 0x3e9e377a, v20
	v_fmac_f32_e32 v4, 0x3e9e377a, v20
	v_add_f32_e32 v20, v19, v28
	v_fmac_f32_e32 v154, 0x3f167918, v29
	v_fmac_f32_e32 v152, 0xbf167918, v29
	v_fma_f32 v1, -0.5, v1, v153
	v_sub_f32_e32 v39, v30, v21
	v_add_f32_e32 v36, v36, v37
	v_fmac_f32_e32 v154, 0x3e9e377a, v2
	v_fmac_f32_e32 v152, 0x3e9e377a, v2
	v_add_f32_e32 v2, v26, v34
	v_lshlrev_b32_sdwa v37, v27, v18 dst_sel:DWORD dst_unused:UNUSED_PAD src0_sel:DWORD src1_sel:WORD_0
	v_add_f32_e32 v18, v32, v33
	v_fmac_f32_e32 v153, -0.5, v20
	v_sub_f32_e32 v20, v34, v38
	v_add_f32_e32 v2, v2, v38
	v_sub_f32_e32 v27, v30, v34
	v_sub_f32_e32 v30, v21, v38
	;; [unrolled: 1-line block ×3, first 2 shown]
	v_add_f32_e32 v32, v18, v35
	v_add_f32_e32 v18, v2, v21
	v_sub_f32_e32 v2, v28, v35
	v_fmamk_f32 v156, v29, 0x3f737871, v0
	v_fmamk_f32 v157, v39, 0xbf737871, v1
	v_fmac_f32_e32 v0, 0xbf737871, v29
	v_fmac_f32_e32 v1, 0x3f737871, v39
	v_fmamk_f32 v155, v20, 0x3f737871, v153
	v_fmac_f32_e32 v153, 0xbf737871, v20
	v_add_f32_e32 v21, v27, v30
	v_add_f32_e32 v2, v19, v2
	v_fmac_f32_e32 v0, 0xbf167918, v31
	v_fmac_f32_e32 v1, 0x3f167918, v20
	;; [unrolled: 1-line block ×10, first 2 shown]
	v_add_nc_u32_e32 v26, 0x3000, v37
	v_add_f32_e32 v19, v32, v28
	v_fmac_f32_e32 v156, 0x3e9e377a, v21
	v_fmac_f32_e32 v157, 0x3e9e377a, v2
	ds_write2_b64 v80, v[7:8], v[5:6] offset1:77
	ds_write_b64 v80, v[3:4] offset:2464
	ds_write2_b64 v26, v[154:155], v[152:153] offset0:158 offset1:235
	ds_write2_b64 v26, v[18:19], v[156:157] offset0:4 offset1:81
	ds_write_b64 v37, v[0:1] offset:14784
	v_lshlrev_b32_e32 v0, 5, v213
	v_add_co_u32 v4, s0, s10, v17
	v_add_co_ci_u32_e64 v5, null, s11, 0, s0
	v_add_co_u32 v6, s0, s10, v0
	v_add_co_ci_u32_e64 v7, null, s11, 0, s0
	v_add_co_u32 v0, s0, 0x800, v4
	v_add_co_ci_u32_e64 v1, s0, 0, v5, s0
	v_add_co_u32 v2, s0, 0x800, v6
	v_add_co_ci_u32_e64 v3, s0, 0, v7, s0
	buffer_store_dword v37, off, s[20:23], 0 offset:500 ; 4-byte Folded Spill
	s_waitcnt lgkmcnt(0)
	s_waitcnt_vscnt null, 0x0
	s_barrier
	buffer_gl0_inv
	s_clause 0x1
	global_load_dwordx4 v[152:155], v[0:1], off offset:976
	global_load_dwordx4 v[156:159], v[2:3], off offset:976
	v_add_co_u32 v0, s0, 0xbd0, v4
	v_lshlrev_b32_e32 v4, 5, v212
	v_add_co_ci_u32_e64 v1, s0, 0, v5, s0
	v_add_co_u32 v2, s0, 0xbd0, v6
	v_add_co_ci_u32_e64 v3, s0, 0, v7, s0
	v_add_co_u32 v4, s0, s10, v4
	v_add_co_ci_u32_e64 v5, null, s11, 0, s0
	s_clause 0x1
	global_load_dwordx4 v[172:175], v[0:1], off offset:16
	global_load_dwordx4 v[168:171], v[2:3], off offset:16
	v_add_co_u32 v0, s0, 0x800, v4
	v_add_co_ci_u32_e64 v1, s0, 0, v5, s0
	global_load_dwordx4 v[160:163], v[0:1], off offset:976
	v_add_co_u32 v0, s0, 0xbd0, v4
	v_add_co_ci_u32_e64 v1, s0, 0, v5, s0
	global_load_dwordx4 v[164:167], v[0:1], off offset:16
	ds_read2_b64 v[0:3], v12 offset0:2 offset1:57
	ds_read2_b64 v[4:7], v109 offset0:4 offset1:59
	;; [unrolled: 1-line block ×5, first 2 shown]
	s_waitcnt vmcnt(5) lgkmcnt(4)
	v_mul_f32_e32 v17, v1, v155
	v_mul_f32_e32 v71, v0, v155
	s_waitcnt vmcnt(4)
	v_mul_f32_e32 v18, v3, v159
	v_mul_f32_e32 v8, v2, v159
	s_waitcnt lgkmcnt(2)
	v_mul_f32_e32 v19, v176, v157
	v_fma_f32 v185, v0, v154, -v17
	v_fmac_f32_e32 v71, v1, v154
	v_mul_f32_e32 v1, v177, v157
	v_fma_f32 v17, v2, v158, -v18
	v_fmac_f32_e32 v8, v3, v158
	v_fmac_f32_e32 v19, v177, v156
	s_waitcnt lgkmcnt(1)
	v_mul_f32_e32 v207, v210, v153
	v_fma_f32 v238, v176, v156, -v1
	s_waitcnt vmcnt(3)
	v_mul_f32_e32 v184, v4, v175
	s_waitcnt vmcnt(2)
	v_mul_f32_e32 v0, v7, v171
	v_mul_f32_e32 v20, v5, v175
	v_mul_f32_e32 v18, v6, v171
	s_waitcnt lgkmcnt(0)
	v_mul_f32_e32 v206, v216, v173
	v_fmac_f32_e32 v184, v5, v174
	v_fma_f32 v237, v6, v170, -v0
	v_fma_f32 v190, v4, v174, -v20
	v_fmac_f32_e32 v18, v7, v170
	s_waitcnt vmcnt(1)
	v_mul_f32_e32 v0, v179, v161
	v_mul_f32_e32 v4, v178, v161
	v_fmac_f32_e32 v206, v217, v172
	v_fmac_f32_e32 v207, v211, v152
	v_sub_f32_e32 v33, v19, v18
	v_fma_f32 v5, v178, v160, -v0
	ds_read2_b64 v[0:3], v13 offset0:186 offset1:241
	v_fmac_f32_e32 v4, v179, v160
	ds_read2_b64 v[176:179], v68 offset1:55
	v_sub_f32_e32 v243, v207, v184
	v_sub_f32_e32 v242, v71, v206
	v_add_f32_e32 v28, v207, v184
	v_sub_f32_e32 v27, v71, v207
	v_sub_f32_e32 v29, v206, v184
	;; [unrolled: 1-line block ×3, first 2 shown]
	s_waitcnt lgkmcnt(1)
	v_mul_f32_e32 v6, v1, v169
	v_mul_f32_e32 v239, v0, v169
	s_waitcnt vmcnt(0)
	v_mul_f32_e32 v7, v2, v165
	v_fma_f32 v240, v0, v168, -v6
	v_mul_f32_e32 v0, v3, v165
	v_fmac_f32_e32 v239, v1, v168
	v_fmac_f32_e32 v7, v3, v164
	v_sub_f32_e32 v3, v184, v206
	v_sub_f32_e32 v34, v17, v240
	v_fma_f32 v6, v2, v164, -v0
	v_mul_f32_e32 v0, v211, v153
	v_sub_f32_e32 v2, v207, v71
	v_fma_f32 v191, v210, v152, -v0
	v_mul_f32_e32 v0, v217, v173
	v_add_f32_e32 v241, v2, v3
	v_sub_f32_e32 v244, v191, v190
	v_fma_f32 v196, v216, v172, -v0
	v_sub_f32_e32 v0, v191, v185
	ds_read2_b64 v[216:219], v68 offset0:110 offset1:165
	ds_read2_b64 v[228:231], v12 offset0:112 offset1:167
	;; [unrolled: 1-line block ×10, first 2 shown]
	v_add_f32_e32 v21, v191, v190
	v_sub_f32_e32 v20, v185, v191
	v_sub_f32_e32 v1, v190, v196
	;; [unrolled: 1-line block ×4, first 2 shown]
	v_add_f32_e32 v197, v0, v1
	v_add_f32_e32 v0, v185, v196
	;; [unrolled: 1-line block ×4, first 2 shown]
	s_waitcnt lgkmcnt(8)
	v_mul_f32_e32 v30, v228, v163
	v_fma_f32 v0, -0.5, v0, v176
	v_fma_f32 v1, -0.5, v1, v177
	v_fmac_f32_e32 v30, v229, v162
	v_fmamk_f32 v2, v243, 0x3f737871, v0
	v_fmamk_f32 v3, v244, 0xbf737871, v1
	v_fmac_f32_e32 v0, 0xbf737871, v243
	v_fmac_f32_e32 v1, 0x3f737871, v244
	v_sub_f32_e32 v31, v30, v4
	v_fmac_f32_e32 v2, 0x3f167918, v242
	v_fmac_f32_e32 v3, 0xbf167918, v245
	;; [unrolled: 1-line block ×4, first 2 shown]
	v_sub_f32_e32 v36, v30, v7
	v_fmac_f32_e32 v2, 0x3e9e377a, v197
	v_fmac_f32_e32 v3, 0x3e9e377a, v241
	;; [unrolled: 1-line block ×4, first 2 shown]
	ds_write_b64 v68, v[2:3] offset:3080
	v_add_f32_e32 v3, v177, v207
	v_add_f32_e32 v2, v176, v191
	v_fma_f32 v176, -0.5, v21, v176
	v_fma_f32 v177, -0.5, v28, v177
	ds_write_b64 v68, v[0:1] offset:12320
	v_add_f32_e32 v3, v3, v71
	v_add_f32_e32 v0, v178, v238
	;; [unrolled: 1-line block ×4, first 2 shown]
	v_fmamk_f32 v185, v245, 0x3f737871, v177
	v_add_f32_e32 v3, v3, v206
	v_fmac_f32_e32 v177, 0xbf737871, v245
	v_add_f32_e32 v0, v0, v17
	v_add_f32_e32 v1, v1, v8
	;; [unrolled: 1-line block ×4, first 2 shown]
	v_fmamk_f32 v184, v242, 0xbf737871, v176
	v_fmac_f32_e32 v176, 0x3f737871, v242
	v_add_f32_e32 v21, v27, v29
	v_fmac_f32_e32 v185, 0xbf167918, v244
	v_fmac_f32_e32 v177, 0x3f167918, v244
	;; [unrolled: 1-line block ×4, first 2 shown]
	v_add_f32_e32 v0, v0, v240
	v_add_f32_e32 v1, v1, v239
	;; [unrolled: 1-line block ×3, first 2 shown]
	v_fmac_f32_e32 v184, 0x3e9e377a, v20
	v_fmac_f32_e32 v185, 0x3e9e377a, v21
	v_fmac_f32_e32 v176, 0x3e9e377a, v20
	v_fmac_f32_e32 v177, 0x3e9e377a, v21
	v_add_f32_e32 v0, v0, v237
	v_add_f32_e32 v1, v1, v18
	ds_write_b64 v68, v[184:185] offset:6160
	ds_read_b64 v[241:242], v68 offset:14960
	ds_write_b64 v68, v[176:177] offset:9240
	s_waitcnt lgkmcnt(12)
	v_mul_f32_e32 v29, v186, v167
	ds_write2_b64 v68, v[2:3], v[0:1] offset1:55
	v_add_f32_e32 v0, v17, v240
	v_add_f32_e32 v1, v238, v237
	v_sub_f32_e32 v2, v240, v237
	v_sub_f32_e32 v3, v239, v18
	v_fmac_f32_e32 v29, v187, v166
	v_fma_f32 v0, -0.5, v0, v178
	v_fma_f32 v178, -0.5, v1, v178
	v_sub_f32_e32 v1, v17, v238
	v_sub_f32_e32 v32, v7, v29
	;; [unrolled: 1-line block ×3, first 2 shown]
	v_add_f32_e32 v20, v1, v2
	v_add_f32_e32 v1, v8, v239
	;; [unrolled: 1-line block ×4, first 2 shown]
	v_sub_f32_e32 v32, v8, v239
	v_fma_f32 v1, -0.5, v1, v179
	v_fmac_f32_e32 v179, -0.5, v2
	v_sub_f32_e32 v2, v8, v19
	v_sub_f32_e32 v8, v19, v8
	v_add_f32_e32 v21, v2, v3
	v_mul_f32_e32 v2, v229, v163
	v_fmamk_f32 v229, v34, 0x3f737871, v179
	v_fmac_f32_e32 v179, 0xbf737871, v34
	v_fma_f32 v26, v228, v162, -v2
	v_mul_f32_e32 v2, v187, v167
	v_fmamk_f32 v228, v32, 0xbf737871, v178
	v_fmac_f32_e32 v178, 0x3f737871, v32
	v_fmac_f32_e32 v179, 0x3f167918, v35
	v_sub_f32_e32 v38, v26, v6
	v_fma_f32 v27, v186, v166, -v2
	v_sub_f32_e32 v2, v26, v5
	v_fmac_f32_e32 v178, 0xbf167918, v33
	v_fmac_f32_e32 v179, 0x3e9e377a, v21
	;; [unrolled: 1-line block ×3, first 2 shown]
	v_sub_f32_e32 v3, v6, v27
	v_sub_f32_e32 v39, v5, v27
	v_fmac_f32_e32 v178, 0x3e9e377a, v20
	v_fmac_f32_e32 v229, 0xbf167918, v35
	;; [unrolled: 1-line block ×3, first 2 shown]
	v_add_f32_e32 v28, v2, v3
	v_add_f32_e32 v2, v5, v27
	;; [unrolled: 1-line block ×3, first 2 shown]
	v_fmac_f32_e32 v229, 0x3e9e377a, v21
	v_fma_f32 v2, -0.5, v2, v216
	v_fma_f32 v3, -0.5, v3, v217
	v_fmamk_f32 v243, v36, 0xbf737871, v2
	v_fmac_f32_e32 v2, 0x3f737871, v36
	v_fmamk_f32 v244, v38, 0x3f737871, v3
	v_fmac_f32_e32 v3, 0xbf737871, v38
	v_fmac_f32_e32 v243, 0x3f167918, v37
	;; [unrolled: 1-line block ×9, first 2 shown]
	ds_write2_b64 v13, v[178:179], v[2:3] offset0:186 offset1:241
	v_lshlrev_b32_e32 v2, 5, v233
	v_add_co_u32 v70, s0, s10, v2
	v_add_co_ci_u32_e64 v71, null, s11, 0, s0
	v_add_co_u32 v2, s0, 0x800, v70
	v_add_co_ci_u32_e64 v3, s0, 0, v71, s0
	v_add_co_u32 v176, s0, 0xbd0, v70
	v_add_co_ci_u32_e64 v177, s0, 0, v71, s0
	s_clause 0x1
	global_load_dwordx4 v[184:187], v[2:3], off offset:976
	global_load_dwordx4 v[176:179], v[176:177], off offset:16
	s_waitcnt vmcnt(1)
	v_mul_f32_e32 v2, v231, v187
	v_mul_f32_e32 v71, v230, v187
	s_waitcnt lgkmcnt(13)
	v_mul_f32_e32 v190, v199, v185
	s_waitcnt vmcnt(0) lgkmcnt(12)
	v_mul_f32_e32 v246, v192, v177
	v_fma_f32 v70, v230, v186, -v2
	v_mul_f32_e32 v2, v189, v179
	v_fmac_f32_e32 v71, v231, v186
	v_mul_f32_e32 v231, v188, v179
	v_fma_f32 v233, v198, v184, -v190
	v_fmac_f32_e32 v246, v193, v176
	v_fma_f32 v230, v188, v178, -v2
	v_lshlrev_b32_e32 v2, 5, v234
	v_fmac_f32_e32 v231, v189, v178
	v_mul_f32_e32 v234, v198, v185
	v_add_co_u32 v188, s0, s10, v2
	v_add_co_ci_u32_e64 v189, null, s11, 0, s0
	v_fmac_f32_e32 v234, v199, v184
	v_add_co_u32 v2, s0, 0x800, v188
	v_add_co_ci_u32_e64 v3, s0, 0, v189, s0
	v_add_co_u32 v188, s0, 0xbd0, v188
	v_add_co_ci_u32_e64 v189, s0, 0, v189, s0
	s_clause 0x1
	global_load_dwordx4 v[196:199], v[2:3], off offset:976
	global_load_dwordx4 v[188:191], v[188:189], off offset:16
	s_waitcnt vmcnt(1)
	v_mul_f32_e32 v2, v201, v197
	v_mul_f32_e32 v236, v200, v197
	s_waitcnt vmcnt(0)
	v_mul_f32_e32 v248, v194, v189
	s_waitcnt lgkmcnt(10)
	v_mul_f32_e32 v250, v202, v199
	s_waitcnt lgkmcnt(9)
	v_mul_f32_e32 v254, v180, v191
	v_fma_f32 v235, v200, v196, -v2
	v_mul_f32_e32 v2, v193, v177
	v_fmac_f32_e32 v236, v201, v196
	v_fmac_f32_e32 v248, v195, v188
	;; [unrolled: 1-line block ×4, first 2 shown]
	v_fma_f32 v245, v192, v176, -v2
	v_mul_f32_e32 v2, v195, v189
	v_sub_f32_e32 v20, v248, v254
	v_fma_f32 v247, v194, v188, -v2
	v_lshlrev_b32_e32 v2, 5, v16
	v_add_co_u32 v16, s0, s10, v2
	v_add_co_ci_u32_e64 v193, null, s11, 0, s0
	v_add_co_u32 v2, s0, 0x800, v16
	v_add_co_ci_u32_e64 v3, s0, 0, v193, s0
	v_add_co_u32 v192, s0, 0xbd0, v16
	v_mul_f32_e32 v16, v203, v199
	v_add_co_ci_u32_e64 v193, s0, 0, v193, s0
	v_fma_f32 v249, v202, v198, -v16
	s_clause 0x1
	global_load_dwordx4 v[200:203], v[2:3], off offset:976
	global_load_dwordx4 v[192:195], v[192:193], off offset:16
	s_waitcnt vmcnt(1)
	v_mul_f32_e32 v2, v205, v203
	v_mul_f32_e32 v252, v204, v203
	s_waitcnt vmcnt(0)
	v_mul_f32_e32 v232, v182, v195
	v_fma_f32 v251, v204, v202, -v2
	v_mul_f32_e32 v2, v181, v191
	v_fmac_f32_e32 v252, v205, v202
	v_fmac_f32_e32 v232, v183, v194
	v_fma_f32 v253, v180, v190, -v2
	v_mul_f32_e32 v2, v183, v195
	v_fma_f32 v255, v182, v194, -v2
	v_lshlrev_b32_e32 v2, 5, v11
	v_add_co_u32 v11, s0, s10, v2
	v_add_co_ci_u32_e64 v16, null, s11, 0, s0
	v_add_co_u32 v2, s0, 0x800, v11
	v_add_co_ci_u32_e64 v3, s0, 0, v16, s0
	v_add_co_u32 v180, s0, 0xbd0, v11
	v_add_co_ci_u32_e64 v181, s0, 0, v16, s0
	s_clause 0x1
	global_load_dwordx4 v[204:207], v[2:3], off offset:976
	global_load_dwordx4 v[180:183], v[180:181], off offset:16
	s_waitcnt lgkmcnt(8)
	v_mul_f32_e32 v11, v225, v201
	v_sub_f32_e32 v3, v237, v240
	v_sub_f32_e32 v16, v18, v239
	ds_write2_b64 v12, v[228:229], v[243:244] offset0:57 offset1:112
	v_fma_f32 v11, v224, v200, -v11
	v_mul_f32_e32 v224, v224, v201
	v_add_f32_e32 v8, v8, v16
	v_sub_f32_e32 v16, v4, v30
	v_fmac_f32_e32 v224, v225, v200
	s_waitcnt vmcnt(1)
	v_mul_f32_e32 v2, v227, v205
	v_fma_f32 v225, v226, v204, -v2
	v_mul_f32_e32 v226, v226, v205
	v_mul_f32_e32 v2, v215, v207
	v_fmac_f32_e32 v226, v227, v204
	v_fma_f32 v227, v214, v206, -v2
	v_mul_f32_e32 v214, v214, v207
	s_waitcnt lgkmcnt(8)
	v_mul_f32_e32 v2, v221, v193
	v_fmac_f32_e32 v214, v215, v206
	v_fma_f32 v215, v220, v192, -v2
	v_mul_f32_e32 v220, v220, v193
	s_waitcnt vmcnt(0)
	v_mul_f32_e32 v2, v223, v181
	v_fmac_f32_e32 v220, v221, v192
	v_fma_f32 v221, v222, v180, -v2
	v_mul_f32_e32 v222, v222, v181
	v_sub_f32_e32 v2, v238, v17
	v_sub_f32_e32 v17, v29, v7
	v_fmac_f32_e32 v222, v223, v180
	v_add_f32_e32 v223, v2, v3
	v_sub_f32_e32 v2, v5, v26
	v_sub_f32_e32 v3, v27, v6
	v_add_f32_e32 v238, v16, v17
	v_fmamk_f32 v16, v33, 0x3f737871, v0
	v_fmamk_f32 v17, v35, 0xbf737871, v1
	v_fmac_f32_e32 v0, 0xbf737871, v33
	v_add_f32_e32 v237, v2, v3
	v_add_f32_e32 v2, v26, v6
	;; [unrolled: 1-line block ×3, first 2 shown]
	v_fmac_f32_e32 v1, 0x3f737871, v35
	v_fmac_f32_e32 v0, 0xbf167918, v32
	;; [unrolled: 1-line block ×3, first 2 shown]
	v_fma_f32 v2, -0.5, v2, v216
	v_fma_f32 v3, -0.5, v3, v217
	v_fmac_f32_e32 v1, 0x3f167918, v34
	v_fmac_f32_e32 v0, 0x3e9e377a, v223
	;; [unrolled: 1-line block ×3, first 2 shown]
	v_fmamk_f32 v18, v37, 0x3f737871, v2
	v_fmamk_f32 v19, v39, 0xbf737871, v3
	v_fmac_f32_e32 v2, 0xbf737871, v37
	v_fmac_f32_e32 v3, 0x3f737871, v39
	;; [unrolled: 1-line block ×13, first 2 shown]
	v_sub_f32_e32 v8, v70, v245
	ds_write2_b64 v109, v[0:1], v[2:3] offset0:59 offset1:114
	v_add_f32_e32 v0, v216, v5
	v_add_f32_e32 v1, v217, v4
	;; [unrolled: 1-line block ×4, first 2 shown]
	ds_write2_b64 v9, v[16:17], v[18:19] offset0:184 offset1:239
	v_add_f32_e32 v0, v0, v26
	v_add_f32_e32 v1, v1, v30
	v_add_f32_e32 v2, v2, v70
	v_add_f32_e32 v3, v3, v71
	v_sub_f32_e32 v16, v233, v230
	v_add_f32_e32 v0, v0, v6
	v_add_f32_e32 v1, v1, v7
	v_add_f32_e32 v2, v2, v245
	v_add_f32_e32 v3, v3, v246
	v_sub_f32_e32 v6, v71, v246
	;; [unrolled: 5-line block ×3, first 2 shown]
	v_sub_f32_e32 v17, v231, v246
	v_sub_f32_e32 v18, v249, v247
	;; [unrolled: 1-line block ×3, first 2 shown]
	ds_write2_b64 v68, v[0:1], v[2:3] offset0:110 offset1:165
	v_add_f32_e32 v0, v70, v245
	v_add_f32_e32 v1, v233, v230
	v_sub_f32_e32 v2, v245, v230
	v_sub_f32_e32 v3, v246, v231
	v_add_f32_e32 v19, v19, v20
	v_fma_f32 v0, -0.5, v0, v218
	v_fma_f32 v218, -0.5, v1, v218
	v_sub_f32_e32 v1, v70, v233
	v_add_f32_e32 v4, v1, v2
	v_add_f32_e32 v1, v71, v246
	;; [unrolled: 1-line block ×3, first 2 shown]
	v_fma_f32 v1, -0.5, v1, v219
	v_fmac_f32_e32 v219, -0.5, v2
	v_sub_f32_e32 v2, v71, v234
	v_add_f32_e32 v5, v2, v3
	v_fmamk_f32 v2, v6, 0xbf737871, v218
	v_fmamk_f32 v3, v8, 0x3f737871, v219
	v_fmac_f32_e32 v218, 0x3f737871, v6
	v_fmac_f32_e32 v219, 0xbf737871, v8
	;; [unrolled: 1-line block ×10, first 2 shown]
	v_sub_f32_e32 v4, v233, v70
	v_sub_f32_e32 v5, v230, v245
	ds_write_b64 v68, v[2:3] offset:7480
	v_fmamk_f32 v2, v7, 0x3f737871, v0
	v_fmac_f32_e32 v0, 0xbf737871, v7
	v_sub_f32_e32 v7, v234, v71
	v_fmamk_f32 v3, v16, 0xbf737871, v1
	v_fmac_f32_e32 v1, 0x3f737871, v16
	v_add_f32_e32 v4, v4, v5
	v_fmac_f32_e32 v0, 0xbf167918, v6
	v_add_f32_e32 v5, v7, v17
	v_fmac_f32_e32 v2, 0x3f167918, v6
	v_fmac_f32_e32 v1, 0x3f167918, v8
	;; [unrolled: 1-line block ×4, first 2 shown]
	v_sub_f32_e32 v8, v236, v254
	v_fmac_f32_e32 v2, 0x3e9e377a, v4
	v_fmac_f32_e32 v1, 0x3e9e377a, v5
	;; [unrolled: 1-line block ×3, first 2 shown]
	v_sub_f32_e32 v4, v236, v250
	v_sub_f32_e32 v5, v254, v248
	;; [unrolled: 1-line block ×3, first 2 shown]
	ds_write_b64 v68, v[0:1] offset:13640
	v_sub_f32_e32 v0, v235, v249
	v_sub_f32_e32 v1, v253, v247
	v_add_f32_e32 v7, v4, v5
	v_sub_f32_e32 v16, v250, v248
	ds_write_b64 v68, v[218:219] offset:10560
	v_add_f32_e32 v6, v0, v1
	v_add_f32_e32 v0, v249, v247
	;; [unrolled: 1-line block ×3, first 2 shown]
	v_fma_f32 v0, -0.5, v0, v210
	v_fma_f32 v1, -0.5, v1, v211
	v_fmamk_f32 v4, v8, 0x3f737871, v0
	v_fmamk_f32 v5, v17, 0xbf737871, v1
	v_fmac_f32_e32 v0, 0xbf737871, v8
	v_fmac_f32_e32 v1, 0x3f737871, v17
	;; [unrolled: 1-line block ×10, first 2 shown]
	ds_write2_b64 v110, v[2:3], v[4:5] offset0:38 offset1:93
	v_add_f32_e32 v2, v210, v235
	v_add_f32_e32 v3, v211, v236
	;; [unrolled: 1-line block ×4, first 2 shown]
	ds_write_b64 v68, v[0:1] offset:14080
	v_add_f32_e32 v2, v2, v249
	v_add_f32_e32 v3, v3, v250
	v_add_f32_e32 v4, v4, v251
	v_add_f32_e32 v5, v5, v252
	v_add_f32_e32 v0, v251, v215
	v_add_f32_e32 v2, v2, v247
	v_add_f32_e32 v3, v3, v248
	v_add_f32_e32 v4, v4, v215
	v_add_f32_e32 v5, v5, v220
	v_add_f32_e32 v1, v11, v255
	v_add_f32_e32 v2, v2, v253
	v_add_f32_e32 v3, v3, v254
	v_add_f32_e32 v4, v4, v255
	v_add_f32_e32 v5, v5, v232
	v_fma_f32 v0, -0.5, v0, v212
	v_fma_f32 v212, -0.5, v1, v212
	v_sub_f32_e32 v1, v251, v11
	ds_write2_b64 v111, v[2:3], v[4:5] offset0:92 offset1:147
	v_add_f32_e32 v2, v235, v253
	v_add_f32_e32 v3, v236, v254
	v_sub_f32_e32 v4, v249, v235
	v_sub_f32_e32 v5, v247, v253
	v_fma_f32 v2, -0.5, v2, v210
	v_fma_f32 v3, -0.5, v3, v211
	v_add_f32_e32 v21, v4, v5
	v_fmamk_f32 v4, v16, 0xbf737871, v2
	v_fmac_f32_e32 v2, 0x3f737871, v16
	v_fmamk_f32 v5, v18, 0x3f737871, v3
	v_fmac_f32_e32 v3, 0xbf737871, v18
	v_sub_f32_e32 v16, v224, v232
	v_fmac_f32_e32 v4, 0x3f167918, v8
	v_fmac_f32_e32 v2, 0xbf167918, v8
	;; [unrolled: 1-line block ×4, first 2 shown]
	v_sub_f32_e32 v8, v252, v220
	v_sub_f32_e32 v17, v251, v215
	v_fmac_f32_e32 v2, 0x3e9e377a, v21
	v_sub_f32_e32 v18, v11, v255
	v_fmac_f32_e32 v3, 0x3e9e377a, v19
	v_fmac_f32_e32 v4, 0x3e9e377a, v21
	;; [unrolled: 1-line block ×3, first 2 shown]
	v_sub_f32_e32 v19, v227, v221
	ds_write_b64 v68, v[2:3] offset:11000
	v_sub_f32_e32 v2, v215, v255
	v_sub_f32_e32 v3, v220, v232
	v_add_f32_e32 v6, v1, v2
	v_add_f32_e32 v1, v252, v220
	;; [unrolled: 1-line block ×3, first 2 shown]
	v_fma_f32 v1, -0.5, v1, v213
	v_fmac_f32_e32 v213, -0.5, v2
	v_sub_f32_e32 v2, v252, v224
	v_add_f32_e32 v7, v2, v3
	v_fmamk_f32 v2, v8, 0xbf737871, v212
	v_fmamk_f32 v3, v17, 0x3f737871, v213
	v_fmac_f32_e32 v212, 0x3f737871, v8
	v_fmac_f32_e32 v213, 0xbf737871, v17
	;; [unrolled: 1-line block ×10, first 2 shown]
	s_waitcnt lgkmcnt(14)
	v_mul_f32_e32 v7, v241, v183
	ds_write2_b64 v10, v[4:5], v[2:3] offset0:94 offset1:149
	v_mul_f32_e32 v2, v242, v183
	v_sub_f32_e32 v4, v11, v251
	v_sub_f32_e32 v5, v255, v215
	;; [unrolled: 1-line block ×3, first 2 shown]
	v_fmamk_f32 v3, v18, 0xbf737871, v1
	v_fma_f32 v6, v241, v182, -v2
	v_fmamk_f32 v2, v16, 0x3f737871, v0
	v_fmac_f32_e32 v0, 0xbf737871, v16
	v_sub_f32_e32 v16, v232, v220
	v_fmac_f32_e32 v1, 0x3f737871, v18
	v_add_f32_e32 v4, v4, v5
	v_fmac_f32_e32 v7, v242, v182
	v_fmac_f32_e32 v0, 0xbf167918, v8
	v_add_f32_e32 v5, v11, v16
	v_fmac_f32_e32 v1, 0x3f167918, v17
	v_fmac_f32_e32 v2, 0x3f167918, v8
	;; [unrolled: 1-line block ×4, first 2 shown]
	v_sub_f32_e32 v16, v226, v7
	v_fmac_f32_e32 v1, 0x3e9e377a, v5
	v_fmac_f32_e32 v2, 0x3e9e377a, v4
	;; [unrolled: 1-line block ×3, first 2 shown]
	v_sub_f32_e32 v4, v226, v214
	v_sub_f32_e32 v5, v7, v222
	ds_write_b64 v68, v[0:1] offset:14520
	v_add_f32_e32 v0, v208, v225
	v_add_f32_e32 v1, v209, v226
	v_sub_f32_e32 v18, v225, v6
	v_add_f32_e32 v11, v4, v5
	v_sub_f32_e32 v17, v214, v222
	v_add_f32_e32 v0, v0, v227
	v_add_f32_e32 v1, v1, v214
	ds_write_b64 v68, v[212:213] offset:11440
	v_add_f32_e32 v0, v0, v221
	v_add_f32_e32 v1, v1, v222
	;; [unrolled: 1-line block ×4, first 2 shown]
	ds_write_b64 v68, v[0:1] offset:2640
	v_sub_f32_e32 v0, v225, v227
	v_sub_f32_e32 v1, v6, v221
	v_add_f32_e32 v8, v0, v1
	v_add_f32_e32 v0, v227, v221
	;; [unrolled: 1-line block ×3, first 2 shown]
	v_fma_f32 v0, -0.5, v0, v208
	v_fma_f32 v1, -0.5, v1, v209
	v_fmamk_f32 v4, v16, 0x3f737871, v0
	v_fmamk_f32 v5, v18, 0xbf737871, v1
	v_fmac_f32_e32 v0, 0xbf737871, v16
	v_fmac_f32_e32 v1, 0x3f737871, v18
	;; [unrolled: 1-line block ×10, first 2 shown]
	ds_write2_b64 v110, v[2:3], v[4:5] offset0:148 offset1:203
	v_add_f32_e32 v3, v225, v6
	v_sub_f32_e32 v4, v221, v6
	v_add_f32_e32 v6, v226, v7
	v_sub_f32_e32 v2, v227, v225
	v_sub_f32_e32 v5, v214, v226
	v_fma_f32 v208, -0.5, v3, v208
	v_sub_f32_e32 v7, v222, v7
	v_fmac_f32_e32 v209, -0.5, v6
	v_add_f32_e32 v4, v2, v4
	ds_write_b64 v68, v[0:1] offset:14960
	v_fmamk_f32 v2, v17, 0xbf737871, v208
	v_add_f32_e32 v5, v5, v7
	v_fmamk_f32 v3, v19, 0x3f737871, v209
	v_lshlrev_b32_e32 v0, 3, v69
	v_fmac_f32_e32 v208, 0x3f737871, v17
	v_fmac_f32_e32 v2, 0x3f167918, v16
	;; [unrolled: 1-line block ×10, first 2 shown]
	ds_write_b64 v68, v[2:3] offset:8800
	v_add_co_u32 v2, s0, s8, v0
	v_add_co_ci_u32_e64 v3, null, s9, 0, s0
	ds_write_b64 v68, v[208:209] offset:11880
	v_add_co_u32 v0, s0, 0x3800, v2
	v_add_co_ci_u32_e64 v1, s0, 0, v3, s0
	s_waitcnt lgkmcnt(0)
	s_barrier
	buffer_gl0_inv
	global_load_dwordx2 v[0:1], v[0:1], off offset:1064
	v_add_co_u32 v16, s0, 0x4800, v2
	v_add_co_ci_u32_e64 v17, s0, 0, v3, s0
	v_add_co_u32 v18, s0, 0x4000, v2
	v_add_co_ci_u32_e64 v19, s0, 0, v3, s0
	s_clause 0x1
	global_load_dwordx2 v[208:209], v[16:17], off offset:48
	global_load_dwordx2 v[210:211], v[18:19], off offset:1216
	ds_read2_b64 v[4:7], v68 offset1:55
	s_waitcnt vmcnt(2) lgkmcnt(0)
	v_mul_f32_e32 v8, v5, v1
	v_mul_f32_e32 v213, v4, v1
	v_fma_f32 v212, v4, v0, -v8
	v_fmac_f32_e32 v213, v5, v0
	v_add_co_u32 v0, s0, 0x3c28, v2
	v_add_co_ci_u32_e64 v1, s0, 0, v3, s0
	s_clause 0x3
	global_load_dwordx2 v[4:5], v[0:1], off offset:440
	global_load_dwordx2 v[214:215], v[0:1], off offset:880
	;; [unrolled: 1-line block ×4, first 2 shown]
	ds_write_b64 v68, v[212:213]
	s_waitcnt vmcnt(3)
	v_mul_f32_e32 v0, v7, v5
	v_mul_f32_e32 v221, v6, v5
	v_fma_f32 v220, v6, v4, -v0
	s_clause 0x2
	global_load_dwordx2 v[0:1], v[16:17], off offset:1368
	global_load_dwordx2 v[212:213], v[16:17], off offset:1808
	;; [unrolled: 1-line block ×3, first 2 shown]
	v_fmac_f32_e32 v221, v7, v4
	ds_read2_b64 v[4:7], v110 offset0:38 offset1:93
	s_waitcnt vmcnt(2) lgkmcnt(0)
	v_mul_f32_e32 v8, v5, v1
	v_mul_f32_e32 v225, v4, v1
	s_waitcnt vmcnt(1)
	v_mul_f32_e32 v227, v6, v213
	v_fma_f32 v224, v4, v0, -v8
	v_fmac_f32_e32 v225, v5, v0
	v_mul_f32_e32 v0, v7, v213
	v_fmac_f32_e32 v227, v7, v212
	v_fma_f32 v226, v6, v212, -v0
	v_add_co_u32 v0, s0, 0x5800, v2
	v_add_co_ci_u32_e64 v1, s0, 0, v3, s0
	v_add_co_u32 v212, s0, 0x6000, v2
	v_add_co_ci_u32_e64 v213, s0, 0, v3, s0
	s_clause 0x3
	global_load_dwordx2 v[228:229], v[0:1], off offset:1672
	global_load_dwordx2 v[230:231], v[212:213], off offset:64
	;; [unrolled: 1-line block ×4, first 2 shown]
	ds_read2_b64 v[4:7], v13 offset0:76 offset1:131
	s_waitcnt vmcnt(3) lgkmcnt(0)
	v_mul_f32_e32 v8, v5, v229
	v_mul_f32_e32 v240, v4, v229
	s_waitcnt vmcnt(2)
	v_mul_f32_e32 v229, v6, v231
	v_fma_f32 v239, v4, v228, -v8
	v_mul_f32_e32 v4, v7, v231
	v_fmac_f32_e32 v240, v5, v228
	v_fmac_f32_e32 v229, v7, v230
	v_fma_f32 v228, v6, v230, -v4
	v_add_co_u32 v230, s0, 0x6800, v2
	v_add_co_ci_u32_e64 v231, s0, 0, v3, s0
	v_add_co_u32 v241, s0, 0x7000, v2
	v_add_co_ci_u32_e64 v242, s0, 0, v3, s0
	s_clause 0x3
	global_load_dwordx2 v[243:244], v[230:231], off offset:1976
	global_load_dwordx2 v[245:246], v[241:242], off offset:368
	;; [unrolled: 1-line block ×4, first 2 shown]
	ds_read2_b64 v[4:7], v109 offset0:114 offset1:169
	s_waitcnt vmcnt(3) lgkmcnt(0)
	v_mul_f32_e32 v8, v5, v244
	v_mul_f32_e32 v250, v4, v244
	s_waitcnt vmcnt(2)
	v_mul_f32_e32 v244, v6, v246
	v_fma_f32 v249, v4, v243, -v8
	v_mul_f32_e32 v4, v7, v246
	v_fmac_f32_e32 v250, v5, v243
	v_fmac_f32_e32 v244, v7, v245
	v_fma_f32 v243, v6, v245, -v4
	ds_read2_b64 v[4:7], v9 offset0:74 offset1:129
	s_waitcnt vmcnt(0) lgkmcnt(0)
	v_mul_f32_e32 v8, v5, v19
	v_mul_f32_e32 v246, v4, v19
	v_fma_f32 v245, v4, v18, -v8
	v_mul_f32_e32 v4, v7, v209
	v_fmac_f32_e32 v246, v5, v18
	v_mul_f32_e32 v5, v6, v209
	v_fma_f32 v4, v6, v208, -v4
	v_add_co_u32 v6, s0, 0x5000, v2
	v_fmac_f32_e32 v5, v7, v208
	v_add_co_ci_u32_e64 v7, s0, 0, v3, s0
	s_clause 0x3
	global_load_dwordx2 v[18:19], v[0:1], off offset:352
	global_load_dwordx2 v[208:209], v[0:1], off offset:792
	;; [unrolled: 1-line block ×4, first 2 shown]
	ds_read2_b64 v[0:3], v12 offset0:112 offset1:167
	s_waitcnt vmcnt(0) lgkmcnt(0)
	v_mul_f32_e32 v8, v1, v254
	v_mul_f32_e32 v21, v0, v254
	;; [unrolled: 1-line block ×3, first 2 shown]
	v_fma_f32 v20, v0, v253, -v8
	v_mul_f32_e32 v0, v3, v19
	v_fmac_f32_e32 v21, v1, v253
	v_fmac_f32_e32 v254, v3, v18
	v_fma_f32 v253, v2, v18, -v0
	s_clause 0x2
	global_load_dwordx2 v[18:19], v[230:231], off offset:216
	global_load_dwordx2 v[235:236], v[230:231], off offset:656
	;; [unrolled: 1-line block ×3, first 2 shown]
	ds_read2_b64 v[0:3], v14 offset0:150 offset1:205
	s_waitcnt vmcnt(2) lgkmcnt(0)
	v_mul_f32_e32 v8, v1, v19
	v_mul_f32_e32 v27, v0, v19
	s_waitcnt vmcnt(1)
	v_mul_f32_e32 v19, v2, v236
	v_fma_f32 v26, v0, v18, -v8
	v_mul_f32_e32 v0, v3, v236
	v_fmac_f32_e32 v27, v1, v18
	v_fmac_f32_e32 v19, v3, v235
	v_fma_f32 v18, v2, v235, -v0
	ds_read2_b64 v[0:3], v68 offset0:110 offset1:165
	s_waitcnt lgkmcnt(0)
	v_mul_f32_e32 v8, v1, v215
	v_mul_f32_e32 v236, v0, v215
	;; [unrolled: 1-line block ×3, first 2 shown]
	v_fma_f32 v235, v0, v214, -v8
	v_mul_f32_e32 v0, v3, v217
	v_fmac_f32_e32 v236, v1, v214
	v_fmac_f32_e32 v215, v3, v216
	v_fma_f32 v214, v2, v216, -v0
	s_clause 0x3
	global_load_dwordx2 v[216:217], v[6:7], off offset:200
	global_load_dwordx2 v[28:29], v[6:7], off offset:640
	;; [unrolled: 1-line block ×4, first 2 shown]
	ds_read2_b64 v[0:3], v110 offset0:148 offset1:203
	s_waitcnt vmcnt(3) lgkmcnt(0)
	v_mul_f32_e32 v8, v1, v217
	v_mul_f32_e32 v33, v0, v217
	s_waitcnt vmcnt(2)
	v_mul_f32_e32 v35, v2, v29
	v_fma_f32 v32, v0, v216, -v8
	v_mul_f32_e32 v0, v3, v29
	v_fmac_f32_e32 v33, v1, v216
	v_fmac_f32_e32 v35, v3, v28
	v_fma_f32 v34, v2, v28, -v0
	ds_read2_b64 v[0:3], v13 offset0:186 offset1:241
	s_waitcnt lgkmcnt(0)
	v_mul_f32_e32 v8, v1, v234
	v_mul_f32_e32 v29, v0, v234
	;; [unrolled: 1-line block ×3, first 2 shown]
	v_fma_f32 v28, v0, v233, -v8
	v_mul_f32_e32 v0, v3, v238
	v_fmac_f32_e32 v29, v1, v233
	v_fmac_f32_e32 v217, v3, v237
	v_fma_f32 v216, v2, v237, -v0
	ds_read2_b64 v[0:3], v111 offset0:92 offset1:147
	s_waitcnt lgkmcnt(0)
	v_mul_f32_e32 v8, v3, v211
	v_mul_f32_e32 v234, v2, v211
	;; [unrolled: 1-line block ×3, first 2 shown]
	v_fma_f32 v233, v2, v210, -v8
	v_mul_f32_e32 v2, v1, v219
	v_fmac_f32_e32 v234, v3, v210
	v_fmac_f32_e32 v211, v1, v218
	v_fma_f32 v210, v0, v218, -v2
	ds_read2_b64 v[0:3], v9 offset0:184 offset1:239
	s_waitcnt vmcnt(0) lgkmcnt(0)
	v_mul_f32_e32 v8, v1, v17
	v_mul_f32_e32 v219, v0, v17
	;; [unrolled: 1-line block ×3, first 2 shown]
	v_fma_f32 v218, v0, v16, -v8
	v_mul_f32_e32 v0, v3, v223
	v_fmac_f32_e32 v219, v1, v16
	v_fmac_f32_e32 v17, v3, v222
	v_fma_f32 v16, v2, v222, -v0
	s_clause 0x4
	global_load_dwordx2 v[222:223], v[241:242], off offset:808
	global_load_dwordx2 v[237:238], v[241:242], off offset:1248
	;; [unrolled: 1-line block ×5, first 2 shown]
	ds_read2_b64 v[0:3], v15 offset0:96 offset1:151
	s_waitcnt vmcnt(4) lgkmcnt(0)
	v_mul_f32_e32 v8, v1, v223
	v_mul_f32_e32 v37, v0, v223
	s_waitcnt vmcnt(3)
	v_mul_f32_e32 v39, v2, v238
	v_fma_f32 v36, v0, v222, -v8
	v_mul_f32_e32 v0, v3, v238
	v_fmac_f32_e32 v37, v1, v222
	v_fmac_f32_e32 v39, v3, v237
	v_fma_f32 v38, v2, v237, -v0
	ds_read2_b64 v[0:3], v12 offset0:2 offset1:57
	s_waitcnt vmcnt(1) lgkmcnt(0)
	v_mul_f32_e32 v8, v3, v7
	v_mul_f32_e32 v223, v2, v7
	;; [unrolled: 1-line block ×3, first 2 shown]
	v_fma_f32 v222, v2, v6, -v8
	v_mul_f32_e32 v2, v1, v31
	v_fmac_f32_e32 v223, v3, v6
	v_fmac_f32_e32 v7, v1, v30
	v_fma_f32 v6, v0, v30, -v2
	ds_read2_b64 v[0:3], v10 offset0:94 offset1:149
	s_waitcnt lgkmcnt(0)
	v_mul_f32_e32 v8, v1, v209
	v_mul_f32_e32 v31, v0, v209
	;; [unrolled: 1-line block ×3, first 2 shown]
	v_fma_f32 v30, v0, v208, -v8
	v_mul_f32_e32 v0, v3, v252
	v_fmac_f32_e32 v31, v1, v208
	v_fmac_f32_e32 v209, v3, v251
	v_fma_f32 v208, v2, v251, -v0
	ds_read2_b64 v[0:3], v14 offset0:40 offset1:95
	s_waitcnt lgkmcnt(0)
	v_mul_f32_e32 v8, v3, v71
	v_mul_f32_e32 v238, v2, v71
	s_waitcnt vmcnt(0)
	v_mul_f32_e32 v252, v0, v213
	v_fma_f32 v237, v2, v70, -v8
	v_fmac_f32_e32 v238, v3, v70
	global_load_dwordx2 v[70:71], v[230:231], off offset:1096
	v_mul_f32_e32 v2, v1, v213
	v_fmac_f32_e32 v252, v1, v212
	v_fma_f32 v251, v0, v212, -v2
	ds_read2_b64 v[0:3], v109 offset0:4 offset1:59
	s_waitcnt lgkmcnt(0)
	v_mul_f32_e32 v231, v2, v248
	v_fmac_f32_e32 v231, v3, v247
	s_waitcnt vmcnt(0)
	v_mul_f32_e32 v8, v1, v71
	v_mul_f32_e32 v213, v0, v71
	v_fma_f32 v212, v0, v70, -v8
	v_mul_f32_e32 v0, v3, v248
	v_fmac_f32_e32 v213, v1, v70
	v_fma_f32 v230, v2, v247, -v0
	v_add_nc_u32_e32 v0, 0x1400, v68
	ds_write2_b64 v0, v[34:35], v[6:7] offset0:75 offset1:130
	ds_read_b64 v[0:1], v68 offset:14960
	s_waitcnt lgkmcnt(0)
	v_mul_f32_e32 v2, v1, v242
	v_mul_f32_e32 v3, v0, v242
	v_fma_f32 v2, v0, v241, -v2
	v_fmac_f32_e32 v3, v1, v241
	v_add_nc_u32_e32 v0, 0x3800, v68
	ds_write2_b64 v0, v[38:39], v[2:3] offset0:23 offset1:78
	ds_write2_b64 v9, v[233:234], v[245:246] offset0:19 offset1:74
	;; [unrolled: 1-line block ×10, first 2 shown]
	v_add_nc_u32_e32 v0, 0x2c00, v68
	v_add_nc_u32_e32 v1, 0xc00, v68
	;; [unrolled: 1-line block ×3, first 2 shown]
	ds_write2_b64 v0, v[18:19], v[212:213] offset0:77 offset1:132
	ds_write2_b64 v68, v[214:215], v[210:211] offset0:165 offset1:220
	;; [unrolled: 1-line block ×6, first 2 shown]
	s_waitcnt lgkmcnt(0)
	s_barrier
	buffer_gl0_inv
	ds_read2_b64 v[16:19], v110 offset0:38 offset1:93
	ds_read2_b64 v[216:219], v14 offset0:40 offset1:95
	;; [unrolled: 1-line block ×5, first 2 shown]
	s_waitcnt lgkmcnt(3)
	v_add_f32_e32 v2, v16, v218
	v_add_f32_e32 v3, v17, v219
	v_sub_f32_e32 v4, v16, v218
	v_sub_f32_e32 v5, v17, v219
	ds_read2_b64 v[218:221], v109 offset0:4 offset1:59
	s_waitcnt lgkmcnt(3)
	v_add_f32_e32 v6, v18, v208
	v_add_f32_e32 v7, v19, v209
	v_sub_f32_e32 v8, v18, v208
	v_sub_f32_e32 v11, v19, v209
	s_waitcnt lgkmcnt(2)
	v_add_f32_e32 v16, v212, v210
	v_add_f32_e32 v17, v213, v211
	v_sub_f32_e32 v18, v212, v210
	v_sub_f32_e32 v19, v213, v211
	;; [unrolled: 5-line block ×3, first 2 shown]
	v_add_f32_e32 v212, v222, v220
	v_add_f32_e32 v213, v223, v221
	v_sub_f32_e32 v214, v222, v220
	v_sub_f32_e32 v215, v223, v221
	ds_read2_b64 v[218:221], v13 offset0:76 offset1:131
	s_waitcnt lgkmcnt(0)
	v_add_f32_e32 v34, v224, v218
	v_add_f32_e32 v35, v225, v219
	v_sub_f32_e32 v36, v218, v224
	v_sub_f32_e32 v37, v219, v225
	ds_read2_b64 v[222:225], v12 offset0:112 offset1:167
	s_waitcnt lgkmcnt(0)
	;; [unrolled: 6-line block ×4, first 2 shown]
	v_add_f32_e32 v10, v222, v220
	v_add_f32_e32 v245, v223, v221
	v_sub_f32_e32 v246, v220, v222
	v_sub_f32_e32 v247, v221, v223
	v_add_f32_e32 v248, v224, v216
	v_add_f32_e32 v249, v225, v217
	v_sub_f32_e32 v250, v216, v224
	v_sub_f32_e32 v251, v217, v225
	ds_read2_b64 v[216:219], v111 offset0:92 offset1:147
	ds_read2_b64 v[220:223], v109 offset0:114 offset1:169
	;; [unrolled: 1-line block ×3, first 2 shown]
	ds_read2_b64 v[228:231], v68 offset1:55
	ds_read2_b64 v[237:240], v9 offset0:184 offset1:239
	ds_read2_b64 v[241:244], v68 offset0:110 offset1:165
	ds_read_b64 v[32:33], v68 offset:14960
	s_waitcnt lgkmcnt(5)
	v_add_f32_e32 v252, v218, v220
	v_add_f32_e32 v254, v219, v221
	s_waitcnt lgkmcnt(4)
	v_add_f32_e32 v71, v224, v222
	v_add_f32_e32 v80, v225, v223
	v_sub_f32_e32 v219, v219, v221
	v_add_f32_e32 v20, v2, v252
	s_waitcnt lgkmcnt(0)
	v_add_f32_e32 v106, v239, v32
	v_add_f32_e32 v107, v240, v33
	v_sub_f32_e32 v239, v239, v32
	v_sub_f32_e32 v218, v218, v220
	v_add_f32_e32 v253, v34, v20
	v_add_f32_e32 v20, v3, v254
	;; [unrolled: 1-line block ×3, first 2 shown]
	v_sub_f32_e32 v240, v240, v33
	v_sub_f32_e32 v223, v225, v223
	v_sub_f32_e32 v225, v36, v4
	v_add_f32_e32 v255, v35, v20
	v_add_f32_e32 v20, v6, v71
	;; [unrolled: 1-line block ×4, first 2 shown]
	v_sub_f32_e32 v222, v224, v222
	v_add_f32_e32 v21, v229, v255
	v_add_f32_e32 v69, v38, v20
	;; [unrolled: 1-line block ×5, first 2 shown]
	v_sub_f32_e32 v216, v252, v34
	v_add_f32_e32 v26, v230, v69
	v_add_f32_e32 v81, v39, v20
	;; [unrolled: 1-line block ×4, first 2 shown]
	v_sub_f32_e32 v217, v34, v2
	v_sub_f32_e32 v34, v254, v35
	v_add_f32_e32 v27, v231, v81
	ds_read2_b64 v[228:231], v15 offset0:96 offset1:151
	s_waitcnt lgkmcnt(0)
	s_barrier
	buffer_gl0_inv
	buffer_load_dword v108, off, s[20:23], 0 offset:420 ; 4-byte Folded Reload
	v_mul_f32_e32 v216, 0x3f4a47b2, v216
	v_sub_f32_e32 v224, v35, v3
	v_add_f32_e32 v35, v36, v4
	v_sub_f32_e32 v36, v218, v36
	v_mul_f32_e32 v225, 0x3f08b237, v225
	v_sub_f32_e32 v4, v4, v218
	v_sub_f32_e32 v2, v2, v252
	;; [unrolled: 1-line block ×3, first 2 shown]
	v_fmamk_f32 v69, v69, 0xbf955555, v26
	v_add_f32_e32 v82, v226, v228
	v_sub_f32_e32 v226, v226, v228
	v_add_f32_e32 v228, v37, v5
	v_add_f32_e32 v88, v227, v229
	v_sub_f32_e32 v227, v227, v229
	v_sub_f32_e32 v229, v37, v5
	;; [unrolled: 1-line block ×3, first 2 shown]
	v_add_f32_e32 v228, v228, v219
	v_sub_f32_e32 v5, v5, v219
	buffer_load_dword v219, off, s[20:23], 0 offset:384 ; 4-byte Folded Reload
	v_add_f32_e32 v28, v16, v82
	v_add_f32_e32 v90, v237, v230
	;; [unrolled: 1-line block ×3, first 2 shown]
	v_sub_f32_e32 v231, v238, v231
	v_mul_f32_e32 v238, 0x3f4a47b2, v34
	v_add_f32_e32 v83, v233, v28
	v_add_f32_e32 v28, v17, v88
	v_mul_f32_e32 v229, 0x3f08b237, v229
	v_fmamk_f32 v34, v217, 0x3d64c772, v216
	v_sub_f32_e32 v230, v237, v230
	v_add_f32_e32 v237, v35, v218
	v_add_f32_e32 v89, v234, v28
	;; [unrolled: 1-line block ×6, first 2 shown]
	v_fmamk_f32 v242, v255, 0xbf955555, v21
	v_fmamk_f32 v255, v36, 0xbeae86e6, v225
	v_add_f32_e32 v30, v243, v91
	v_add_f32_e32 v105, v245, v28
	;; [unrolled: 1-line block ×3, first 2 shown]
	v_fmamk_f32 v241, v253, 0xbf955555, v20
	v_fmamk_f32 v253, v37, 0xbeae86e6, v229
	v_fmac_f32_e32 v255, 0xbee1c552, v237
	v_add_f32_e32 v31, v244, v105
	v_add_f32_e32 v243, v34, v241
	v_fmamk_f32 v34, v224, 0x3d64c772, v238
	v_fmac_f32_e32 v253, 0xbee1c552, v228
	v_add_f32_e32 v244, v34, v242
	v_add_f32_e32 v34, v243, v253
	v_sub_f32_e32 v35, v244, v255
	s_waitcnt vmcnt(1)
	ds_write2_b64 v108, v[20:21], v[34:35] offset1:1
	v_fma_f32 v34, 0xbf5ff5aa, v4, -v225
	v_mul_f32_e32 v4, 0xbf5ff5aa, v4
	v_mul_f32_e32 v20, 0x3d64c772, v217
	v_mul_f32_e32 v21, 0x3d64c772, v224
	v_fmac_f32_e32 v34, 0xbee1c552, v237
	v_fma_f32 v35, 0x3eae86e6, v36, -v4
	v_mul_f32_e32 v4, 0xbf5ff5aa, v5
	v_fma_f32 v20, 0x3f3bfb3b, v2, -v20
	v_fma_f32 v2, 0xbf3bfb3b, v2, -v216
	;; [unrolled: 1-line block ×6, first 2 shown]
	v_add_f32_e32 v20, v20, v241
	v_add_f32_e32 v216, v2, v241
	v_add_f32_e32 v21, v21, v242
	v_add_f32_e32 v217, v3, v242
	v_fmac_f32_e32 v37, 0xbee1c552, v228
	v_fmac_f32_e32 v36, 0xbee1c552, v228
	;; [unrolled: 1-line block ×3, first 2 shown]
	v_add_f32_e32 v5, v34, v21
	v_add_f32_e32 v2, v37, v216
	v_sub_f32_e32 v4, v20, v36
	v_sub_f32_e32 v3, v217, v35
	ds_write2_b64 v108, v[2:3], v[4:5] offset0:2 offset1:3
	v_add_f32_e32 v2, v36, v20
	v_sub_f32_e32 v3, v21, v34
	v_sub_f32_e32 v4, v216, v37
	v_add_f32_e32 v5, v35, v217
	v_sub_f32_e32 v21, v70, v8
	v_sub_f32_e32 v36, v232, v11
	v_add_f32_e32 v20, v70, v8
	v_sub_f32_e32 v34, v222, v70
	ds_write2_b64 v108, v[2:3], v[4:5] offset0:4 offset1:5
	v_sub_f32_e32 v2, v243, v253
	v_add_f32_e32 v3, v255, v244
	v_sub_f32_e32 v4, v38, v6
	v_sub_f32_e32 v5, v39, v7
	v_add_f32_e32 v35, v232, v11
	v_sub_f32_e32 v37, v223, v232
	ds_write_b64 v108, v[2:3] offset:48
	v_sub_f32_e32 v2, v71, v38
	v_sub_f32_e32 v3, v80, v39
	v_mul_f32_e32 v21, 0x3f08b237, v21
	v_mul_f32_e32 v36, 0x3f08b237, v36
	v_add_f32_e32 v20, v20, v222
	v_mul_f32_e32 v38, 0x3f4a47b2, v2
	v_mul_f32_e32 v39, 0x3f4a47b2, v3
	v_add_f32_e32 v35, v35, v223
	v_fmamk_f32 v70, v81, 0xbf955555, v27
	v_fmamk_f32 v217, v37, 0xbeae86e6, v36
	;; [unrolled: 1-line block ×4, first 2 shown]
	v_mul_f32_e32 v4, 0x3d64c772, v4
	v_fmac_f32_e32 v217, 0xbee1c552, v35
	v_add_f32_e32 v81, v2, v69
	v_fmamk_f32 v2, v5, 0x3d64c772, v39
	v_fmac_f32_e32 v218, 0xbee1c552, v20
	v_mul_f32_e32 v5, 0x3d64c772, v5
	v_add_f32_e32 v216, v2, v70
	v_add_f32_e32 v2, v81, v217
	v_sub_f32_e32 v3, v216, v218
	s_waitcnt vmcnt(0)
	ds_write2_b64 v219, v[26:27], v[2:3] offset1:1
	v_sub_f32_e32 v2, v6, v71
	v_sub_f32_e32 v6, v8, v222
	;; [unrolled: 1-line block ×4, first 2 shown]
	v_fma_f32 v4, 0x3f3bfb3b, v2, -v4
	v_fma_f32 v2, 0xbf3bfb3b, v2, -v38
	;; [unrolled: 1-line block ×3, first 2 shown]
	v_mul_f32_e32 v6, 0xbf5ff5aa, v6
	v_fma_f32 v11, 0xbf5ff5aa, v7, -v36
	v_add_f32_e32 v21, v4, v69
	v_add_f32_e32 v26, v2, v69
	buffer_load_dword v69, off, s[20:23], 0 offset:380 ; 4-byte Folded Reload
	v_mul_f32_e32 v7, 0xbf5ff5aa, v7
	v_fma_f32 v5, 0x3f3bfb3b, v3, -v5
	v_fma_f32 v3, 0xbf3bfb3b, v3, -v39
	;; [unrolled: 1-line block ×3, first 2 shown]
	v_fmac_f32_e32 v11, 0xbee1c552, v35
	v_fma_f32 v7, 0x3eae86e6, v37, -v7
	v_add_f32_e32 v27, v5, v70
	v_add_f32_e32 v34, v3, v70
	v_fmac_f32_e32 v6, 0xbee1c552, v20
	v_fmac_f32_e32 v8, 0xbee1c552, v20
	;; [unrolled: 1-line block ×3, first 2 shown]
	v_sub_f32_e32 v4, v21, v11
	v_sub_f32_e32 v20, v236, v19
	;; [unrolled: 1-line block ×3, first 2 shown]
	v_add_f32_e32 v5, v8, v27
	v_add_f32_e32 v2, v7, v26
	v_fmamk_f32 v35, v89, 0xbf955555, v29
	v_mul_f32_e32 v20, 0x3f08b237, v20
	ds_write2_b64 v219, v[2:3], v[4:5] offset0:2 offset1:3
	v_add_f32_e32 v2, v11, v21
	v_sub_f32_e32 v3, v27, v8
	v_sub_f32_e32 v4, v26, v7
	v_add_f32_e32 v5, v6, v34
	v_sub_f32_e32 v7, v235, v18
	v_add_f32_e32 v6, v235, v18
	v_sub_f32_e32 v8, v226, v235
	v_add_f32_e32 v11, v236, v19
	ds_write2_b64 v219, v[2:3], v[4:5] offset0:4 offset1:5
	v_sub_f32_e32 v2, v81, v217
	v_add_f32_e32 v3, v218, v216
	v_sub_f32_e32 v4, v233, v16
	v_sub_f32_e32 v5, v234, v17
	v_sub_f32_e32 v21, v227, v236
	v_mul_f32_e32 v7, 0x3f08b237, v7
	ds_write_b64 v219, v[2:3] offset:48
	v_sub_f32_e32 v2, v82, v233
	v_sub_f32_e32 v3, v88, v234
	v_fmamk_f32 v34, v83, 0xbf955555, v28
	v_add_f32_e32 v6, v6, v226
	v_add_f32_e32 v11, v11, v227
	v_mul_f32_e32 v26, 0x3f4a47b2, v2
	v_mul_f32_e32 v27, 0x3f4a47b2, v3
	v_fmamk_f32 v38, v21, 0xbeae86e6, v20
	v_fmamk_f32 v39, v8, 0xbeae86e6, v7
	;; [unrolled: 1-line block ×3, first 2 shown]
	v_mul_f32_e32 v4, 0x3d64c772, v4
	v_fmac_f32_e32 v38, 0xbee1c552, v11
	v_fmac_f32_e32 v39, 0xbee1c552, v6
	v_add_f32_e32 v36, v2, v34
	v_fmamk_f32 v2, v5, 0x3d64c772, v27
	v_mul_f32_e32 v5, 0x3d64c772, v5
	v_add_f32_e32 v37, v2, v35
	v_add_f32_e32 v2, v36, v38
	v_sub_f32_e32 v3, v37, v39
	s_waitcnt vmcnt(0)
	ds_write2_b64 v69, v[28:29], v[2:3] offset1:1
	v_sub_f32_e32 v2, v16, v82
	v_sub_f32_e32 v3, v17, v88
	;; [unrolled: 1-line block ×5, first 2 shown]
	v_fma_f32 v4, 0x3f3bfb3b, v2, -v4
	v_fma_f32 v2, 0xbf3bfb3b, v2, -v26
	;; [unrolled: 1-line block ×3, first 2 shown]
	v_mul_f32_e32 v16, 0xbf5ff5aa, v16
	v_fma_f32 v5, 0x3f3bfb3b, v3, -v5
	v_add_f32_e32 v18, v4, v34
	v_add_f32_e32 v19, v2, v34
	buffer_load_dword v34, off, s[20:23], 0 offset:376 ; 4-byte Folded Reload
	v_fma_f32 v8, 0x3eae86e6, v8, -v16
	v_fma_f32 v16, 0xbf5ff5aa, v17, -v20
	v_mul_f32_e32 v17, 0xbf5ff5aa, v17
	v_fma_f32 v3, 0xbf3bfb3b, v3, -v27
	v_add_f32_e32 v20, v5, v35
	v_fmac_f32_e32 v8, 0xbee1c552, v6
	v_fmac_f32_e32 v16, 0xbee1c552, v11
	v_fma_f32 v17, 0x3eae86e6, v21, -v17
	v_add_f32_e32 v21, v3, v35
	v_fmac_f32_e32 v7, 0xbee1c552, v6
	v_add_f32_e32 v6, v246, v210
	v_sub_f32_e32 v4, v18, v16
	v_fmac_f32_e32 v17, 0xbee1c552, v11
	v_sub_f32_e32 v3, v21, v8
	v_add_f32_e32 v5, v7, v20
	v_sub_f32_e32 v11, v247, v211
	v_add_f32_e32 v6, v6, v230
	v_add_f32_e32 v2, v17, v19
	v_mul_f32_e32 v11, 0x3f08b237, v11
	ds_write2_b64 v69, v[2:3], v[4:5] offset0:2 offset1:3
	v_add_f32_e32 v2, v16, v18
	v_sub_f32_e32 v3, v20, v7
	v_sub_f32_e32 v4, v19, v17
	v_add_f32_e32 v5, v8, v21
	v_sub_f32_e32 v7, v246, v210
	v_sub_f32_e32 v8, v230, v246
	;; [unrolled: 1-line block ×3, first 2 shown]
	v_fmamk_f32 v19, v91, 0xbf955555, v30
	ds_write2_b64 v69, v[2:3], v[4:5] offset0:4 offset1:5
	v_sub_f32_e32 v2, v36, v38
	v_add_f32_e32 v3, v39, v37
	v_sub_f32_e32 v4, v10, v208
	v_sub_f32_e32 v5, v245, v209
	v_mul_f32_e32 v7, 0x3f08b237, v7
	v_fmamk_f32 v20, v105, 0xbf955555, v31
	ds_write_b64 v69, v[2:3] offset:48
	v_sub_f32_e32 v2, v90, v10
	v_sub_f32_e32 v3, v104, v245
	v_add_f32_e32 v10, v247, v211
	v_fmamk_f32 v27, v16, 0xbeae86e6, v11
	v_fmamk_f32 v28, v8, 0xbeae86e6, v7
	v_mul_f32_e32 v17, 0x3f4a47b2, v2
	v_mul_f32_e32 v18, 0x3f4a47b2, v3
	v_add_f32_e32 v10, v10, v231
	v_fma_f32 v7, 0xbf5ff5aa, v29, -v7
	v_fmac_f32_e32 v28, 0xbee1c552, v6
	v_fmamk_f32 v2, v4, 0x3d64c772, v17
	v_mul_f32_e32 v4, 0x3d64c772, v4
	v_fmac_f32_e32 v27, 0xbee1c552, v10
	v_fmac_f32_e32 v7, 0xbee1c552, v6
	v_add_f32_e32 v21, v2, v19
	v_fmamk_f32 v2, v5, 0x3d64c772, v18
	v_mul_f32_e32 v5, 0x3d64c772, v5
	v_add_f32_e32 v26, v2, v20
	v_add_f32_e32 v2, v21, v27
	v_sub_f32_e32 v3, v26, v28
	s_waitcnt vmcnt(0)
	ds_write2_b64 v34, v[30:31], v[2:3] offset1:1
	buffer_load_dword v31, off, s[20:23], 0 offset:372 ; 4-byte Folded Reload
	v_sub_f32_e32 v2, v208, v90
	v_sub_f32_e32 v30, v211, v231
	;; [unrolled: 1-line block ×3, first 2 shown]
	v_fma_f32 v4, 0x3f3bfb3b, v2, -v4
	v_fma_f32 v2, 0xbf3bfb3b, v2, -v17
	v_mul_f32_e32 v17, 0xbf5ff5aa, v29
	v_fma_f32 v5, 0x3f3bfb3b, v3, -v5
	v_fma_f32 v3, 0xbf3bfb3b, v3, -v18
	;; [unrolled: 1-line block ×3, first 2 shown]
	v_add_f32_e32 v18, v2, v19
	v_fma_f32 v8, 0x3eae86e6, v8, -v17
	v_mul_f32_e32 v17, 0xbf5ff5aa, v30
	v_sub_f32_e32 v29, v214, v239
	v_fmac_f32_e32 v11, 0xbee1c552, v10
	v_sub_f32_e32 v30, v215, v240
	v_fmac_f32_e32 v8, 0xbee1c552, v6
	v_fma_f32 v16, 0x3eae86e6, v16, -v17
	v_add_f32_e32 v17, v4, v19
	v_add_f32_e32 v19, v5, v20
	;; [unrolled: 1-line block ×4, first 2 shown]
	v_fmac_f32_e32 v16, 0xbee1c552, v10
	v_sub_f32_e32 v4, v17, v11
	v_add_f32_e32 v5, v7, v19
	v_sub_f32_e32 v3, v20, v8
	v_add_f32_e32 v10, v251, v215
	v_add_f32_e32 v2, v16, v18
	;; [unrolled: 1-line block ×4, first 2 shown]
	ds_write2_b64 v34, v[2:3], v[4:5] offset0:2 offset1:3
	v_add_f32_e32 v2, v11, v17
	v_sub_f32_e32 v3, v19, v7
	v_sub_f32_e32 v4, v18, v16
	v_add_f32_e32 v5, v8, v20
	v_sub_f32_e32 v7, v250, v214
	v_sub_f32_e32 v11, v251, v215
	;; [unrolled: 1-line block ×4, first 2 shown]
	ds_write2_b64 v34, v[2:3], v[4:5] offset0:4 offset1:5
	v_sub_f32_e32 v2, v21, v27
	v_add_f32_e32 v3, v28, v26
	v_sub_f32_e32 v4, v248, v212
	v_sub_f32_e32 v5, v249, v213
	v_mul_f32_e32 v7, 0x3f08b237, v7
	v_mul_f32_e32 v11, 0x3f08b237, v11
	ds_write_b64 v34, v[2:3] offset:48
	v_sub_f32_e32 v2, v106, v248
	v_sub_f32_e32 v3, v107, v249
	v_fmamk_f32 v19, v220, 0xbf955555, v32
	v_fmamk_f32 v20, v221, 0xbf955555, v33
	;; [unrolled: 1-line block ×3, first 2 shown]
	v_mul_f32_e32 v17, 0x3f4a47b2, v2
	v_mul_f32_e32 v18, 0x3f4a47b2, v3
	v_fmamk_f32 v28, v8, 0xbeae86e6, v7
	v_fma_f32 v7, 0xbf5ff5aa, v29, -v7
	v_fmac_f32_e32 v27, 0xbee1c552, v10
	v_fmamk_f32 v2, v4, 0x3d64c772, v17
	v_mul_f32_e32 v4, 0x3d64c772, v4
	v_fmac_f32_e32 v28, 0xbee1c552, v6
	v_fma_f32 v11, 0xbf5ff5aa, v30, -v11
	v_fmac_f32_e32 v7, 0xbee1c552, v6
	v_add_f32_e32 v21, v2, v19
	v_fmamk_f32 v2, v5, 0x3d64c772, v18
	v_mul_f32_e32 v5, 0x3d64c772, v5
	v_fmac_f32_e32 v11, 0xbee1c552, v10
	v_sub_f32_e32 v210, v21, v27
	v_add_f32_e32 v26, v2, v20
	v_add_f32_e32 v2, v21, v27
	v_sub_f32_e32 v3, v26, v28
	v_add_f32_e32 v211, v28, v26
	s_waitcnt vmcnt(0)
	ds_write2_b64 v31, v[32:33], v[2:3] offset1:1
	v_sub_f32_e32 v2, v212, v106
	v_sub_f32_e32 v3, v213, v107
	v_fma_f32 v4, 0x3f3bfb3b, v2, -v4
	v_fma_f32 v2, 0xbf3bfb3b, v2, -v17
	v_mul_f32_e32 v17, 0xbf5ff5aa, v29
	v_fma_f32 v5, 0x3f3bfb3b, v3, -v5
	v_fma_f32 v3, 0xbf3bfb3b, v3, -v18
	v_add_f32_e32 v18, v2, v19
	v_fma_f32 v8, 0x3eae86e6, v8, -v17
	v_mul_f32_e32 v17, 0xbf5ff5aa, v30
	v_fmac_f32_e32 v8, 0xbee1c552, v6
	v_fma_f32 v16, 0x3eae86e6, v16, -v17
	v_add_f32_e32 v17, v4, v19
	v_add_f32_e32 v19, v5, v20
	;; [unrolled: 1-line block ×3, first 2 shown]
	v_fmac_f32_e32 v16, 0xbee1c552, v10
	v_sub_f32_e32 v4, v17, v11
	v_add_f32_e32 v5, v7, v19
	v_sub_f32_e32 v3, v20, v8
	v_add_f32_e32 v209, v8, v20
	v_add_f32_e32 v2, v16, v18
	v_sub_f32_e32 v208, v18, v16
	ds_write2_b64 v31, v[2:3], v[4:5] offset0:2 offset1:3
	v_add_f32_e32 v2, v11, v17
	v_sub_f32_e32 v3, v19, v7
	ds_write2_b64 v31, v[2:3], v[208:209] offset0:4 offset1:5
	ds_write_b64 v31, v[210:211] offset:48
	s_waitcnt lgkmcnt(0)
	s_barrier
	buffer_gl0_inv
	ds_read_b64 v[20:21], v68 offset:14880
	ds_read2_b64 v[16:19], v9 offset0:94 offset1:149
	ds_read2_b64 v[244:247], v1 offset0:76 offset1:141
	;; [unrolled: 1-line block ×9, first 2 shown]
	ds_read2_b64 v[228:231], v14 offset1:55
	ds_read2_b64 v[216:219], v68 offset1:55
	ds_read2_b64 v[212:215], v68 offset0:110 offset1:175
	ds_read2_b64 v[12:15], v110 offset0:188 offset1:243
	;; [unrolled: 1-line block ×5, first 2 shown]
	s_and_saveexec_b32 s0, vcc_lo
	s_cbranch_execz .LBB0_7
; %bb.6:
	ds_read2_b64 v[27:30], v110 offset0:3 offset1:178
	ds_read2_b64 v[208:211], v111 offset0:37 offset1:212
	v_add_nc_u32_e32 v26, 0x1a00, v68
	s_waitcnt lgkmcnt(1)
	buffer_store_dword v27, off, s[20:23], 0 offset:4 ; 4-byte Folded Spill
	buffer_store_dword v28, off, s[20:23], 0 offset:8 ; 4-byte Folded Spill
	;; [unrolled: 1-line block ×4, first 2 shown]
	v_add_nc_u32_e32 v27, 0x2400, v68
	ds_read2_b64 v[27:30], v27 offset0:63 offset1:238
	s_waitcnt lgkmcnt(0)
	buffer_store_dword v27, off, s[20:23], 0 offset:52 ; 4-byte Folded Spill
	buffer_store_dword v28, off, s[20:23], 0 offset:56 ; 4-byte Folded Spill
	;; [unrolled: 1-line block ×4, first 2 shown]
	ds_read2_b64 v[27:30], v109 offset0:29 offset1:204
	s_waitcnt lgkmcnt(0)
	buffer_store_dword v27, off, s[20:23], 0 offset:20 ; 4-byte Folded Spill
	buffer_store_dword v28, off, s[20:23], 0 offset:24 ; 4-byte Folded Spill
	;; [unrolled: 1-line block ×4, first 2 shown]
	ds_read_b64 v[27:28], v68 offset:15320
	s_waitcnt lgkmcnt(0)
	buffer_store_dword v27, off, s[20:23], 0 offset:68 ; 4-byte Folded Spill
	buffer_store_dword v28, off, s[20:23], 0 offset:72 ; 4-byte Folded Spill
	ds_read2_b64 v[26:29], v26 offset0:33 offset1:208
	s_waitcnt lgkmcnt(0)
	buffer_store_dword v26, off, s[20:23], 0 offset:36 ; 4-byte Folded Spill
	buffer_store_dword v27, off, s[20:23], 0 offset:40 ; 4-byte Folded Spill
	;; [unrolled: 1-line block ×4, first 2 shown]
.LBB0_7:
	s_or_b32 exec_lo, exec_lo, s0
	s_clause 0x3
	buffer_load_dword v27, off, s[20:23], 0 offset:456
	buffer_load_dword v28, off, s[20:23], 0 offset:460
	;; [unrolled: 1-line block ×4, first 2 shown]
	s_waitcnt lgkmcnt(7)
	v_mul_f32_e32 v89, v59, v5
	s_waitcnt lgkmcnt(0)
	v_mul_f32_e32 v38, v41, v225
	v_fmac_f32_e32 v89, v58, v4
	v_mul_f32_e32 v4, v59, v4
	v_fmac_f32_e32 v38, v40, v224
	v_fma_f32 v4, v58, v5, -v4
	v_mul_f32_e32 v5, v77, v223
	v_mul_f32_e32 v58, v55, v245
	v_fmac_f32_e32 v5, v76, v222
	v_fmac_f32_e32 v58, v54, v244
	s_waitcnt vmcnt(0)
	v_mul_f32_e32 v81, v30, v17
	v_mul_f32_e32 v69, v28, v215
	;; [unrolled: 1-line block ×3, first 2 shown]
	v_fmac_f32_e32 v81, v29, v16
	v_mul_f32_e32 v16, v30, v16
	v_fmac_f32_e32 v69, v27, v214
	v_fma_f32 v80, v27, v215, -v26
	v_fma_f32 v82, v29, v17, -v16
	s_clause 0x3
	buffer_load_dword v26, off, s[20:23], 0 offset:440
	buffer_load_dword v27, off, s[20:23], 0 offset:444
	;; [unrolled: 1-line block ×4, first 2 shown]
	s_waitcnt vmcnt(0)
	v_mul_f32_e32 v17, v29, v13
	v_mul_f32_e32 v16, v27, v246
	;; [unrolled: 1-line block ×3, first 2 shown]
	v_fmac_f32_e32 v17, v28, v12
	v_mul_f32_e32 v12, v29, v12
	v_fma_f32 v88, v26, v247, -v16
	v_fmac_f32_e32 v83, v26, v246
	v_fma_f32 v70, v28, v13, -v12
	v_mul_f32_e32 v12, v23, v243
	v_mul_f32_e32 v13, v23, v242
	v_fmac_f32_e32 v12, v22, v242
	v_fma_f32 v16, v22, v243, -v13
	v_mul_f32_e32 v13, v25, v9
	v_mul_f32_e32 v22, v57, v234
	v_fmac_f32_e32 v13, v24, v8
	v_mul_f32_e32 v8, v25, v8
	v_fma_f32 v71, v56, v235, -v22
	v_mul_f32_e32 v22, v77, v222
	v_mul_f32_e32 v77, v79, v1
	v_fma_f32 v8, v24, v9, -v8
	v_mul_f32_e32 v9, v57, v235
	v_fma_f32 v76, v76, v223, -v22
	s_clause 0x3
	buffer_load_dword v22, off, s[20:23], 0 offset:404
	buffer_load_dword v23, off, s[20:23], 0 offset:408
	;; [unrolled: 1-line block ×4, first 2 shown]
	v_fmac_f32_e32 v77, v78, v0
	v_mul_f32_e32 v0, v79, v0
	v_fmac_f32_e32 v9, v56, v234
	v_mul_f32_e32 v56, v63, v221
	v_fma_f32 v1, v78, v1, -v0
	v_fmac_f32_e32 v56, v62, v220
	s_waitcnt vmcnt(0)
	v_mul_f32_e32 v36, v25, v19
	v_mul_f32_e32 v0, v25, v18
	v_fmac_f32_e32 v36, v24, v18
	v_fma_f32 v37, v24, v19, -v0
	v_mul_f32_e32 v19, v23, v253
	v_mul_f32_e32 v0, v23, v252
	s_clause 0x7
	buffer_load_dword v23, off, s[20:23], 0 offset:388
	buffer_load_dword v24, off, s[20:23], 0 offset:392
	;; [unrolled: 1-line block ×8, first 2 shown]
	s_waitcnt vmcnt(0)
	s_waitcnt_vscnt null, 0x0
	v_fmac_f32_e32 v19, v22, v252
	v_fma_f32 v22, v22, v253, -v0
	s_barrier
	buffer_gl0_inv
	v_mul_f32_e32 v0, v26, v14
	v_mul_f32_e32 v32, v26, v15
	;; [unrolled: 1-line block ×3, first 2 shown]
	v_fma_f32 v33, v25, v15, -v0
	v_mul_f32_e32 v0, v24, v248
	v_fmac_f32_e32 v32, v25, v14
	v_mul_f32_e32 v25, v28, v237
	v_mul_f32_e32 v24, v30, v11
	v_fmac_f32_e32 v34, v23, v248
	v_fma_f32 v35, v23, v249, -v0
	v_mul_f32_e32 v0, v30, v10
	v_fmac_f32_e32 v25, v27, v236
	v_fmac_f32_e32 v24, v29, v10
	v_mul_f32_e32 v30, v47, v7
	v_mul_f32_e32 v23, v43, v3
	v_fma_f32 v26, v29, v11, -v0
	v_mul_f32_e32 v0, v28, v236
	v_mul_f32_e32 v29, v45, v229
	;; [unrolled: 1-line block ×3, first 2 shown]
	v_fmac_f32_e32 v30, v46, v6
	v_mul_f32_e32 v6, v43, v2
	v_fma_f32 v27, v27, v237, -v0
	v_mul_f32_e32 v0, v45, v228
	v_fmac_f32_e32 v29, v44, v228
	v_fmac_f32_e32 v23, v42, v2
	v_mul_f32_e32 v2, v53, v254
	v_fma_f32 v31, v46, v7, -v10
	v_fma_f32 v28, v44, v229, -v0
	v_mul_f32_e32 v0, v41, v224
	v_mul_f32_e32 v44, v53, v255
	v_fma_f32 v45, v52, v255, -v2
	v_mul_f32_e32 v2, v51, v240
	v_fma_f32 v41, v42, v3, -v6
	v_fma_f32 v39, v40, v225, -v0
	v_mul_f32_e32 v0, v55, v244
	v_fmac_f32_e32 v44, v52, v254
	v_mul_f32_e32 v52, v51, v241
	v_mul_f32_e32 v55, v49, v251
	v_add_f32_e32 v3, v217, v80
	v_fma_f32 v59, v54, v245, -v0
	v_mul_f32_e32 v0, v49, v250
	v_fmac_f32_e32 v52, v50, v240
	v_fma_f32 v50, v50, v241, -v2
	v_add_f32_e32 v2, v216, v69
	v_fmac_f32_e32 v55, v48, v250
	v_fma_f32 v54, v48, v251, -v0
	v_mul_f32_e32 v0, v65, v238
	v_add_f32_e32 v3, v3, v82
	v_add_f32_e32 v2, v2, v81
	v_mul_f32_e32 v51, v61, v231
	v_add_f32_e32 v7, v69, v77
	v_fma_f32 v48, v64, v239, -v0
	v_mul_f32_e32 v0, v67, v232
	v_mul_f32_e32 v6, v63, v220
	v_add_f32_e32 v11, v80, v1
	v_mul_f32_e32 v46, v65, v239
	v_sub_f32_e32 v14, v69, v77
	v_fma_f32 v49, v66, v233, -v0
	v_add_f32_e32 v0, v2, v83
	v_add_f32_e32 v2, v3, v88
	v_mul_f32_e32 v3, v61, v230
	v_fma_f32 v57, v62, v221, -v6
	v_mul_f32_e32 v62, v75, v21
	v_add_f32_e32 v0, v0, v17
	v_add_f32_e32 v2, v2, v70
	v_fma_f32 v53, v60, v231, -v3
	v_mul_f32_e32 v3, v73, v226
	v_mul_f32_e32 v6, v75, v20
	v_add_f32_e32 v0, v0, v12
	v_add_f32_e32 v2, v2, v16
	v_mul_f32_e32 v18, 0x3f575c64, v11
	v_fma_f32 v61, v72, v227, -v3
	v_sub_f32_e32 v3, v80, v1
	v_add_f32_e32 v0, v0, v13
	v_add_f32_e32 v2, v2, v8
	v_sub_f32_e32 v75, v82, v76
	v_fmac_f32_e32 v46, v64, v238
	v_mul_f32_e32 v10, 0xbf0a6770, v3
	v_add_f32_e32 v0, v0, v9
	v_add_f32_e32 v2, v2, v71
	v_mul_f32_e32 v42, 0xbf7d64f0, v3
	v_mul_f32_e32 v65, 0xbf4178ce, v3
	v_fmamk_f32 v15, v7, 0x3f575c64, v10
	v_add_f32_e32 v0, v0, v89
	v_add_f32_e32 v2, v2, v4
	v_mul_f32_e32 v47, v67, v233
	v_fmac_f32_e32 v51, v60, v230
	v_mul_f32_e32 v60, v73, v227
	v_add_f32_e32 v0, v0, v5
	v_add_f32_e32 v2, v2, v76
	;; [unrolled: 1-line block ×3, first 2 shown]
	v_fmac_f32_e32 v62, v74, v20
	v_fma_f32 v63, v74, v21, -v6
	v_add_f32_e32 v0, v0, v77
	v_add_f32_e32 v1, v2, v1
	;; [unrolled: 1-line block ×3, first 2 shown]
	v_mul_f32_e32 v15, 0xbf68dda4, v3
	v_mul_f32_e32 v3, 0xbe903f40, v3
	v_fmamk_f32 v6, v14, 0x3f0a6770, v18
	v_fma_f32 v10, 0x3f575c64, v7, -v10
	v_mul_f32_e32 v20, 0x3ed4b147, v11
	v_fmamk_f32 v21, v7, 0x3ed4b147, v15
	v_fma_f32 v15, 0x3ed4b147, v7, -v15
	v_fmamk_f32 v43, v7, 0xbe11bafb, v42
	v_mul_f32_e32 v64, 0xbe11bafb, v11
	v_fma_f32 v42, 0xbe11bafb, v7, -v42
	v_fmamk_f32 v67, v7, 0xbf27a4f4, v65
	v_mul_f32_e32 v69, 0xbf27a4f4, v11
	v_mul_f32_e32 v11, 0xbf75a155, v11
	v_fma_f32 v65, 0xbf27a4f4, v7, -v65
	v_fmamk_f32 v73, v7, 0xbf75a155, v3
	v_add_f32_e32 v77, v81, v5
	v_mul_f32_e32 v78, 0xbf68dda4, v75
	v_fma_f32 v3, 0xbf75a155, v7, -v3
	v_sub_f32_e32 v5, v81, v5
	v_mul_f32_e32 v7, 0x3ed4b147, v76
	v_fmac_f32_e32 v47, v66, v232
	v_fmac_f32_e32 v60, v72, v226
	;; [unrolled: 1-line block ×3, first 2 shown]
	v_add_f32_e32 v6, v217, v6
	v_fmamk_f32 v40, v14, 0x3f68dda4, v20
	v_fmac_f32_e32 v20, 0xbf68dda4, v14
	v_fmamk_f32 v66, v14, 0x3f7d64f0, v64
	v_fmac_f32_e32 v64, 0xbf7d64f0, v14
	;; [unrolled: 2-line block ×4, first 2 shown]
	v_fmamk_f32 v14, v77, 0x3ed4b147, v78
	v_mul_f32_e32 v79, 0xbf4178ce, v75
	v_fmamk_f32 v80, v5, 0x3f68dda4, v7
	v_add_f32_e32 v10, v216, v10
	v_add_f32_e32 v18, v217, v18
	;; [unrolled: 1-line block ×4, first 2 shown]
	v_fma_f32 v14, 0x3ed4b147, v77, -v78
	v_fmac_f32_e32 v7, 0xbf68dda4, v5
	v_fmamk_f32 v78, v77, 0xbf27a4f4, v79
	v_add_f32_e32 v6, v80, v6
	v_mul_f32_e32 v80, 0xbf27a4f4, v76
	v_add_f32_e32 v40, v217, v40
	v_add_f32_e32 v10, v14, v10
	;; [unrolled: 1-line block ×4, first 2 shown]
	v_mul_f32_e32 v18, 0x3e903f40, v75
	v_fmamk_f32 v21, v5, 0x3f4178ce, v80
	v_fma_f32 v78, 0xbf27a4f4, v77, -v79
	v_mul_f32_e32 v79, 0xbf75a155, v76
	v_add_f32_e32 v66, v217, v66
	v_add_f32_e32 v42, v216, v42
	;; [unrolled: 1-line block ×3, first 2 shown]
	v_fmamk_f32 v81, v77, 0xbf75a155, v18
	v_add_f32_e32 v21, v21, v40
	v_fmamk_f32 v40, v5, 0xbe903f40, v79
	v_fma_f32 v18, 0xbf75a155, v77, -v18
	v_fmac_f32_e32 v79, 0x3e903f40, v5
	v_add_f32_e32 v15, v216, v15
	v_add_f32_e32 v20, v217, v20
	v_add_f32_e32 v40, v40, v66
	v_mul_f32_e32 v66, 0xbe11bafb, v76
	v_add_f32_e32 v18, v18, v42
	v_add_f32_e32 v42, v79, v64
	v_mul_f32_e32 v64, 0x3f0a6770, v75
	v_add_f32_e32 v72, v217, v72
	v_add_f32_e32 v69, v217, v69
	v_add_f32_e32 v73, v216, v73
	v_fmac_f32_e32 v80, 0xbf4178ce, v5
	v_add_f32_e32 v15, v78, v15
	v_mul_f32_e32 v78, 0x3f7d64f0, v75
	v_fmamk_f32 v75, v5, 0xbf7d64f0, v66
	v_fmac_f32_e32 v66, 0x3f7d64f0, v5
	v_fmamk_f32 v79, v77, 0x3f575c64, v64
	v_add_f32_e32 v65, v216, v65
	v_add_f32_e32 v20, v80, v20
	v_fmamk_f32 v80, v77, 0xbe11bafb, v78
	v_fma_f32 v78, 0xbe11bafb, v77, -v78
	v_add_f32_e32 v72, v75, v72
	v_mul_f32_e32 v75, 0x3f575c64, v76
	v_add_f32_e32 v66, v66, v69
	v_add_f32_e32 v69, v79, v73
	v_sub_f32_e32 v73, v88, v4
	v_add_f32_e32 v4, v88, v4
	v_add_f32_e32 v74, v217, v74
	;; [unrolled: 1-line block ×5, first 2 shown]
	v_fmamk_f32 v76, v5, 0xbf0a6770, v75
	v_fma_f32 v64, 0x3f575c64, v77, -v64
	v_add_f32_e32 v77, v83, v89
	v_mul_f32_e32 v78, 0xbf7d64f0, v73
	v_fmac_f32_e32 v75, 0x3f0a6770, v5
	v_sub_f32_e32 v5, v83, v89
	v_mul_f32_e32 v79, 0xbe11bafb, v4
	v_add_f32_e32 v74, v76, v74
	v_fmamk_f32 v76, v77, 0xbe11bafb, v78
	v_add_f32_e32 v3, v64, v3
	v_add_f32_e32 v11, v75, v11
	v_fmamk_f32 v64, v5, 0x3f7d64f0, v79
	v_mul_f32_e32 v75, 0x3e903f40, v73
	v_add_f32_e32 v67, v216, v67
	v_add_f32_e32 v2, v76, v2
	v_fma_f32 v76, 0xbe11bafb, v77, -v78
	v_add_f32_e32 v6, v64, v6
	v_fmamk_f32 v64, v77, 0xbf75a155, v75
	v_mul_f32_e32 v78, 0xbf75a155, v4
	v_add_f32_e32 v67, v80, v67
	v_fma_f32 v75, 0xbf75a155, v77, -v75
	v_mul_f32_e32 v80, 0x3ed4b147, v4
	v_add_f32_e32 v14, v64, v14
	v_fmamk_f32 v64, v5, 0xbe903f40, v78
	v_fmac_f32_e32 v79, 0xbf7d64f0, v5
	v_add_f32_e32 v15, v75, v15
	v_mul_f32_e32 v75, 0xbf0a6770, v73
	v_add_f32_e32 v10, v76, v10
	v_add_f32_e32 v21, v64, v21
	v_fmamk_f32 v64, v5, 0xbf68dda4, v80
	v_mul_f32_e32 v76, 0x3f68dda4, v73
	v_fmac_f32_e32 v78, 0x3e903f40, v5
	v_add_f32_e32 v7, v79, v7
	v_mul_f32_e32 v73, 0xbf4178ce, v73
	v_add_f32_e32 v40, v64, v40
	v_fmamk_f32 v64, v77, 0x3f575c64, v75
	v_fmamk_f32 v79, v77, 0x3ed4b147, v76
	v_add_f32_e32 v20, v78, v20
	v_fma_f32 v76, 0x3ed4b147, v77, -v76
	v_mul_f32_e32 v78, 0x3f575c64, v4
	v_add_f32_e32 v64, v64, v67
	v_fma_f32 v67, 0x3f575c64, v77, -v75
	v_fmamk_f32 v75, v77, 0xbf27a4f4, v73
	v_add_f32_e32 v18, v76, v18
	v_fmamk_f32 v76, v5, 0x3f0a6770, v78
	v_mul_f32_e32 v4, 0xbf27a4f4, v4
	v_add_f32_e32 v65, v67, v65
	v_sub_f32_e32 v67, v70, v71
	v_add_f32_e32 v70, v70, v71
	v_fmac_f32_e32 v80, 0x3f68dda4, v5
	v_fmac_f32_e32 v78, 0xbf0a6770, v5
	v_add_f32_e32 v72, v76, v72
	v_add_f32_e32 v69, v75, v69
	v_fmamk_f32 v75, v5, 0x3f4178ce, v4
	v_add_f32_e32 v76, v17, v9
	v_mul_f32_e32 v71, 0xbf4178ce, v67
	v_fmac_f32_e32 v4, 0xbf4178ce, v5
	v_sub_f32_e32 v5, v17, v9
	v_mul_f32_e32 v9, 0xbf27a4f4, v70
	v_add_f32_e32 v43, v216, v43
	v_fmamk_f32 v17, v76, 0xbf27a4f4, v71
	v_add_f32_e32 v4, v4, v11
	v_fma_f32 v73, 0xbf27a4f4, v77, -v73
	v_fmamk_f32 v11, v5, 0x3f4178ce, v9
	v_fma_f32 v71, 0xbf27a4f4, v76, -v71
	v_add_f32_e32 v2, v17, v2
	v_mul_f32_e32 v17, 0x3f7d64f0, v67
	v_fmac_f32_e32 v9, 0xbf4178ce, v5
	v_add_f32_e32 v6, v11, v6
	v_mul_f32_e32 v11, 0xbe11bafb, v70
	v_add_f32_e32 v43, v81, v43
	v_add_f32_e32 v3, v73, v3
	v_fmamk_f32 v73, v76, 0xbe11bafb, v17
	v_add_f32_e32 v10, v71, v10
	v_add_f32_e32 v7, v9, v7
	v_mul_f32_e32 v9, 0xbf0a6770, v67
	v_fmamk_f32 v71, v5, 0xbf7d64f0, v11
	v_fmac_f32_e32 v11, 0x3f7d64f0, v5
	v_add_f32_e32 v43, v79, v43
	v_add_f32_e32 v14, v73, v14
	v_fma_f32 v17, 0xbe11bafb, v76, -v17
	v_fmamk_f32 v73, v76, 0x3f575c64, v9
	v_add_f32_e32 v21, v71, v21
	v_mul_f32_e32 v71, 0x3f575c64, v70
	v_add_f32_e32 v11, v11, v20
	v_mul_f32_e32 v20, 0xbe903f40, v67
	v_add_f32_e32 v74, v75, v74
	v_add_f32_e32 v15, v17, v15
	v_add_f32_e32 v17, v73, v43
	v_fmamk_f32 v43, v5, 0x3f0a6770, v71
	v_fma_f32 v9, 0x3f575c64, v76, -v9
	v_mul_f32_e32 v73, 0xbf75a155, v70
	v_fmamk_f32 v75, v76, 0xbf75a155, v20
	v_fma_f32 v20, 0xbf75a155, v76, -v20
	v_add_f32_e32 v40, v43, v40
	v_add_f32_e32 v18, v9, v18
	v_fmamk_f32 v9, v5, 0x3e903f40, v73
	v_add_f32_e32 v43, v75, v64
	v_mul_f32_e32 v64, 0x3f68dda4, v67
	v_add_f32_e32 v42, v80, v42
	v_add_f32_e32 v66, v78, v66
	v_fmac_f32_e32 v71, 0xbf0a6770, v5
	v_add_f32_e32 v67, v9, v72
	v_mul_f32_e32 v9, 0x3ed4b147, v70
	v_fmac_f32_e32 v73, 0xbe903f40, v5
	v_fmamk_f32 v70, v76, 0x3ed4b147, v64
	v_add_f32_e32 v20, v20, v65
	v_sub_f32_e32 v65, v16, v8
	v_add_f32_e32 v42, v71, v42
	v_fmamk_f32 v71, v5, 0xbf68dda4, v9
	v_add_f32_e32 v66, v73, v66
	v_add_f32_e32 v69, v70, v69
	v_add_f32_e32 v70, v12, v13
	v_mul_f32_e32 v72, 0xbe903f40, v65
	v_add_f32_e32 v73, v16, v8
	v_fma_f32 v8, 0x3ed4b147, v76, -v64
	v_add_f32_e32 v71, v71, v74
	v_fmac_f32_e32 v9, 0x3f68dda4, v5
	v_fmamk_f32 v5, v70, 0xbf75a155, v72
	v_sub_f32_e32 v64, v12, v13
	v_mul_f32_e32 v12, 0xbf75a155, v73
	v_add_f32_e32 v74, v8, v3
	v_mul_f32_e32 v8, 0x3f0a6770, v65
	v_add_f32_e32 v75, v9, v4
	v_add_f32_e32 v4, v5, v2
	v_fmamk_f32 v2, v64, 0x3e903f40, v12
	v_fma_f32 v3, 0xbf75a155, v70, -v72
	v_mul_f32_e32 v9, 0x3f575c64, v73
	v_fmac_f32_e32 v12, 0xbe903f40, v64
	v_fmamk_f32 v13, v70, 0x3f575c64, v8
	v_add_f32_e32 v5, v2, v6
	v_add_f32_e32 v2, v3, v10
	v_fmamk_f32 v10, v64, 0xbf0a6770, v9
	v_add_f32_e32 v3, v12, v7
	v_add_f32_e32 v6, v13, v14
	v_mul_f32_e32 v12, 0xbf4178ce, v65
	v_mul_f32_e32 v14, 0xbf27a4f4, v73
	v_fma_f32 v8, 0x3f575c64, v70, -v8
	v_add_f32_e32 v7, v10, v21
	v_fmac_f32_e32 v9, 0x3f0a6770, v64
	v_fmamk_f32 v10, v70, 0xbf27a4f4, v12
	v_fmamk_f32 v13, v64, 0x3f4178ce, v14
	v_fma_f32 v16, 0xbf27a4f4, v70, -v12
	v_add_f32_e32 v8, v8, v15
	v_fmac_f32_e32 v14, 0xbf4178ce, v64
	v_add_f32_e32 v15, v218, v19
	v_add_f32_e32 v9, v9, v11
	;; [unrolled: 1-line block ×5, first 2 shown]
	v_mul_f32_e32 v17, 0x3f68dda4, v65
	v_add_f32_e32 v11, v14, v42
	v_add_f32_e32 v14, v15, v36
	;; [unrolled: 1-line block ×4, first 2 shown]
	v_fma_f32 v40, 0x3ed4b147, v70, -v17
	v_mul_f32_e32 v18, 0x3ed4b147, v73
	v_add_f32_e32 v42, v14, v34
	v_fmamk_f32 v16, v70, 0x3ed4b147, v17
	v_add_f32_e32 v15, v15, v35
	v_add_f32_e32 v14, v40, v20
	v_fmamk_f32 v21, v64, 0xbf68dda4, v18
	v_add_f32_e32 v20, v42, v32
	v_mul_f32_e32 v40, 0xbe11bafb, v73
	v_add_f32_e32 v15, v15, v33
	v_add_f32_e32 v16, v16, v43
	;; [unrolled: 1-line block ×4, first 2 shown]
	v_fmac_f32_e32 v18, 0x3f68dda4, v64
	v_mul_f32_e32 v21, 0xbf7d64f0, v65
	v_add_f32_e32 v42, v15, v27
	v_fmamk_f32 v43, v64, 0x3f7d64f0, v40
	v_add_f32_e32 v65, v20, v24
	v_add_f32_e32 v15, v18, v66
	v_fmamk_f32 v18, v70, 0xbe11bafb, v21
	v_add_f32_e32 v42, v42, v26
	v_fma_f32 v66, 0xbe11bafb, v70, -v21
	v_add_f32_e32 v21, v43, v71
	v_add_f32_e32 v43, v65, v29
	v_sub_f32_e32 v65, v22, v41
	v_add_f32_e32 v20, v18, v69
	v_add_f32_e32 v42, v42, v28
	;; [unrolled: 1-line block ×3, first 2 shown]
	v_fmac_f32_e32 v40, 0xbf7d64f0, v64
	v_add_f32_e32 v64, v19, v23
	v_mul_f32_e32 v66, 0xbf0a6770, v65
	v_add_f32_e32 v43, v43, v30
	v_add_f32_e32 v42, v42, v31
	;; [unrolled: 1-line block ×3, first 2 shown]
	v_sub_f32_e32 v83, v37, v39
	v_fmamk_f32 v69, v64, 0x3f575c64, v66
	v_add_f32_e32 v22, v43, v38
	v_add_f32_e32 v42, v42, v39
	v_sub_f32_e32 v43, v19, v23
	v_mul_f32_e32 v70, 0x3f575c64, v67
	v_add_f32_e32 v19, v40, v75
	v_add_f32_e32 v40, v218, v69
	v_mul_f32_e32 v69, 0x3ed4b147, v67
	v_mul_f32_e32 v75, 0xbe11bafb, v67
	;; [unrolled: 1-line block ×4, first 2 shown]
	v_add_f32_e32 v37, v37, v39
	v_add_f32_e32 v22, v22, v23
	;; [unrolled: 1-line block ×3, first 2 shown]
	v_fmamk_f32 v41, v43, 0x3f0a6770, v70
	v_mul_f32_e32 v42, 0xbf68dda4, v65
	v_mul_f32_e32 v73, 0xbf7d64f0, v65
	v_mul_f32_e32 v76, 0xbf4178ce, v65
	v_mul_f32_e32 v65, 0xbe903f40, v65
	v_fmamk_f32 v82, v43, 0x3e903f40, v67
	v_add_f32_e32 v88, v36, v38
	v_mul_f32_e32 v39, 0xbf68dda4, v83
	v_fmac_f32_e32 v67, 0xbe903f40, v43
	v_sub_f32_e32 v36, v36, v38
	v_mul_f32_e32 v38, 0x3ed4b147, v37
	v_fma_f32 v66, 0x3f575c64, v64, -v66
	v_fmac_f32_e32 v70, 0xbf0a6770, v43
	v_add_f32_e32 v41, v219, v41
	v_fmamk_f32 v71, v64, 0x3ed4b147, v42
	v_fmamk_f32 v72, v43, 0x3f68dda4, v69
	v_fma_f32 v42, 0x3ed4b147, v64, -v42
	v_fmac_f32_e32 v69, 0xbf68dda4, v43
	v_fmamk_f32 v74, v64, 0xbe11bafb, v73
	v_fmamk_f32 v77, v43, 0x3f7d64f0, v75
	v_fma_f32 v73, 0xbe11bafb, v64, -v73
	v_fmac_f32_e32 v75, 0xbf7d64f0, v43
	;; [unrolled: 4-line block ×3, first 2 shown]
	v_fmamk_f32 v81, v64, 0xbf75a155, v65
	v_fma_f32 v64, 0xbf75a155, v64, -v65
	v_fmamk_f32 v43, v88, 0x3ed4b147, v39
	v_add_f32_e32 v65, v219, v67
	v_mul_f32_e32 v67, 0xbf4178ce, v83
	v_fmamk_f32 v89, v36, 0x3f68dda4, v38
	v_add_f32_e32 v66, v218, v66
	v_add_f32_e32 v70, v219, v70
	;; [unrolled: 1-line block ×4, first 2 shown]
	v_fma_f32 v39, 0x3ed4b147, v88, -v39
	v_fmac_f32_e32 v38, 0xbf68dda4, v36
	v_fmamk_f32 v43, v88, 0xbf27a4f4, v67
	v_add_f32_e32 v41, v89, v41
	v_mul_f32_e32 v89, 0xbf27a4f4, v37
	v_add_f32_e32 v42, v218, v42
	v_add_f32_e32 v69, v219, v69
	;; [unrolled: 1-line block ×5, first 2 shown]
	v_mul_f32_e32 v66, 0x3e903f40, v83
	v_fmamk_f32 v70, v36, 0x3f4178ce, v89
	v_fma_f32 v67, 0xbf27a4f4, v88, -v67
	v_fmac_f32_e32 v89, 0xbf4178ce, v36
	v_mul_f32_e32 v71, 0xbf75a155, v37
	v_add_f32_e32 v72, v219, v72
	v_add_f32_e32 v74, v218, v74
	;; [unrolled: 1-line block ×3, first 2 shown]
	v_fmamk_f32 v90, v88, 0xbf75a155, v66
	v_add_f32_e32 v42, v67, v42
	v_add_f32_e32 v67, v89, v69
	v_fmamk_f32 v69, v36, 0xbe903f40, v71
	v_add_f32_e32 v73, v218, v73
	v_add_f32_e32 v75, v219, v75
	;; [unrolled: 1-line block ×4, first 2 shown]
	v_mul_f32_e32 v74, 0x3f7d64f0, v83
	v_fma_f32 v66, 0xbf75a155, v88, -v66
	v_fmac_f32_e32 v71, 0x3e903f40, v36
	v_add_f32_e32 v69, v69, v77
	v_mul_f32_e32 v77, 0xbe11bafb, v37
	v_add_f32_e32 v76, v218, v76
	v_add_f32_e32 v79, v219, v79
	v_fmamk_f32 v89, v88, 0xbe11bafb, v74
	v_add_f32_e32 v66, v66, v73
	v_add_f32_e32 v71, v71, v75
	v_mul_f32_e32 v73, 0x3f0a6770, v83
	v_fmamk_f32 v75, v36, 0xbf7d64f0, v77
	v_fma_f32 v74, 0xbe11bafb, v88, -v74
	v_fmac_f32_e32 v77, 0x3f7d64f0, v36
	v_add_f32_e32 v80, v219, v80
	v_add_f32_e32 v81, v218, v81
	v_fmamk_f32 v83, v88, 0x3f575c64, v73
	v_mul_f32_e32 v37, 0x3f575c64, v37
	v_add_f32_e32 v74, v74, v76
	v_add_f32_e32 v76, v77, v79
	v_sub_f32_e32 v79, v35, v31
	v_add_f32_e32 v31, v35, v31
	v_add_f32_e32 v82, v219, v82
	;; [unrolled: 1-line block ×5, first 2 shown]
	v_fmamk_f32 v80, v36, 0xbf0a6770, v37
	v_fma_f32 v73, 0x3f575c64, v88, -v73
	v_add_f32_e32 v35, v34, v30
	v_mul_f32_e32 v81, 0xbf7d64f0, v79
	v_fmac_f32_e32 v37, 0x3f0a6770, v36
	v_sub_f32_e32 v30, v34, v30
	v_mul_f32_e32 v34, 0xbe11bafb, v31
	v_add_f32_e32 v36, v80, v82
	v_fmamk_f32 v80, v35, 0xbe11bafb, v81
	v_add_f32_e32 v64, v73, v64
	v_add_f32_e32 v37, v37, v65
	v_fmamk_f32 v65, v30, 0x3f7d64f0, v34
	v_mul_f32_e32 v73, 0x3e903f40, v79
	v_fmac_f32_e32 v34, 0xbf7d64f0, v30
	v_add_f32_e32 v40, v80, v40
	v_fma_f32 v80, 0xbe11bafb, v35, -v81
	v_add_f32_e32 v41, v65, v41
	v_fmamk_f32 v65, v35, 0xbf75a155, v73
	v_mul_f32_e32 v81, 0xbf75a155, v31
	v_add_f32_e32 v34, v34, v38
	v_mul_f32_e32 v38, 0x3f68dda4, v79
	v_add_f32_e32 v39, v80, v39
	v_add_f32_e32 v43, v65, v43
	v_fmamk_f32 v65, v30, 0xbe903f40, v81
	v_fma_f32 v73, 0xbf75a155, v35, -v73
	v_fmamk_f32 v80, v35, 0x3ed4b147, v38
	v_mul_f32_e32 v82, 0x3ed4b147, v31
	v_fma_f32 v38, 0x3ed4b147, v35, -v38
	v_add_f32_e32 v65, v65, v70
	v_add_f32_e32 v42, v73, v42
	v_add_f32_e32 v70, v80, v72
	v_fmamk_f32 v72, v30, 0xbf68dda4, v82
	v_mul_f32_e32 v73, 0xbf0a6770, v79
	v_fmac_f32_e32 v82, 0x3f68dda4, v30
	v_mul_f32_e32 v80, 0x3f575c64, v31
	v_add_f32_e32 v78, v218, v78
	v_add_f32_e32 v69, v72, v69
	v_fmamk_f32 v72, v35, 0x3f575c64, v73
	v_add_f32_e32 v38, v38, v66
	v_add_f32_e32 v66, v82, v71
	v_fmamk_f32 v71, v30, 0x3f0a6770, v80
	v_mul_f32_e32 v79, 0xbf4178ce, v79
	v_fma_f32 v73, 0x3f575c64, v35, -v73
	v_fmac_f32_e32 v80, 0xbf0a6770, v30
	v_add_f32_e32 v78, v89, v78
	v_add_f32_e32 v71, v71, v75
	v_fmamk_f32 v75, v35, 0xbf27a4f4, v79
	v_mul_f32_e32 v31, 0xbf27a4f4, v31
	v_add_f32_e32 v73, v73, v74
	v_add_f32_e32 v74, v80, v76
	v_sub_f32_e32 v76, v33, v28
	v_add_f32_e32 v28, v33, v28
	v_fmac_f32_e32 v81, 0x3e903f40, v30
	v_add_f32_e32 v72, v72, v78
	v_add_f32_e32 v75, v75, v77
	v_fmamk_f32 v77, v30, 0x3f4178ce, v31
	v_add_f32_e32 v78, v32, v29
	v_mul_f32_e32 v33, 0xbf4178ce, v76
	v_fmac_f32_e32 v31, 0xbf4178ce, v30
	v_sub_f32_e32 v29, v32, v29
	v_mul_f32_e32 v30, 0xbf27a4f4, v28
	v_fma_f32 v35, 0xbf27a4f4, v35, -v79
	v_fmamk_f32 v32, v78, 0xbf27a4f4, v33
	v_add_f32_e32 v31, v31, v37
	v_fma_f32 v33, 0xbf27a4f4, v78, -v33
	v_fmamk_f32 v37, v29, 0x3f4178ce, v30
	v_fmac_f32_e32 v30, 0xbf4178ce, v29
	v_add_f32_e32 v32, v32, v40
	v_mul_f32_e32 v40, 0x3f7d64f0, v76
	v_add_f32_e32 v35, v35, v64
	v_add_f32_e32 v37, v37, v41
	v_mul_f32_e32 v41, 0xbe11bafb, v28
	v_add_f32_e32 v33, v33, v39
	v_fmamk_f32 v64, v78, 0xbe11bafb, v40
	v_add_f32_e32 v30, v30, v34
	v_mul_f32_e32 v34, 0xbf0a6770, v76
	v_fmamk_f32 v39, v29, 0xbf7d64f0, v41
	v_add_f32_e32 v67, v81, v67
	v_add_f32_e32 v43, v64, v43
	v_fma_f32 v40, 0xbe11bafb, v78, -v40
	v_fmac_f32_e32 v41, 0x3f7d64f0, v29
	v_fmamk_f32 v64, v78, 0x3f575c64, v34
	v_add_f32_e32 v39, v39, v65
	v_mul_f32_e32 v65, 0x3f575c64, v28
	v_add_f32_e32 v40, v40, v42
	v_add_f32_e32 v41, v41, v67
	;; [unrolled: 1-line block ×3, first 2 shown]
	v_mul_f32_e32 v64, 0xbe903f40, v76
	v_fmamk_f32 v67, v29, 0x3f0a6770, v65
	v_fma_f32 v34, 0x3f575c64, v78, -v34
	v_mul_f32_e32 v70, 0xbf75a155, v28
	v_add_f32_e32 v36, v77, v36
	v_fmac_f32_e32 v65, 0xbf0a6770, v29
	v_fmamk_f32 v77, v78, 0xbf75a155, v64
	v_add_f32_e32 v67, v67, v69
	v_add_f32_e32 v38, v34, v38
	v_fmamk_f32 v34, v29, 0x3e903f40, v70
	v_mul_f32_e32 v69, 0x3f68dda4, v76
	v_add_f32_e32 v65, v65, v66
	v_add_f32_e32 v66, v77, v72
	v_fmac_f32_e32 v70, 0xbe903f40, v29
	v_add_f32_e32 v71, v34, v71
	v_fmamk_f32 v34, v78, 0x3ed4b147, v69
	v_sub_f32_e32 v72, v27, v26
	v_add_f32_e32 v76, v27, v26
	v_fma_f32 v64, 0xbf75a155, v78, -v64
	v_mul_f32_e32 v28, 0x3ed4b147, v28
	v_add_f32_e32 v70, v70, v74
	v_add_f32_e32 v74, v34, v75
	;; [unrolled: 1-line block ×3, first 2 shown]
	v_mul_f32_e32 v34, 0xbe903f40, v72
	v_fma_f32 v26, 0x3ed4b147, v78, -v69
	v_sub_f32_e32 v69, v25, v24
	v_mul_f32_e32 v25, 0xbf75a155, v76
	v_add_f32_e32 v64, v64, v73
	v_fmamk_f32 v73, v29, 0xbf68dda4, v28
	v_fmac_f32_e32 v28, 0x3f68dda4, v29
	v_fmamk_f32 v27, v75, 0xbf75a155, v34
	v_fmamk_f32 v24, v69, 0x3e903f40, v25
	v_fmac_f32_e32 v25, 0xbe903f40, v69
	v_add_f32_e32 v77, v26, v35
	v_add_f32_e32 v78, v28, v31
	v_add_f32_e32 v26, v27, v32
	v_mul_f32_e32 v31, 0x3f0a6770, v72
	v_fma_f32 v28, 0xbf75a155, v75, -v34
	v_mul_f32_e32 v32, 0x3f575c64, v76
	v_add_f32_e32 v25, v25, v30
	v_mul_f32_e32 v30, 0xbf4178ce, v72
	v_fmamk_f32 v29, v75, 0x3f575c64, v31
	v_add_f32_e32 v27, v24, v37
	v_add_f32_e32 v24, v28, v33
	v_fmamk_f32 v33, v69, 0xbf0a6770, v32
	v_fma_f32 v31, 0x3f575c64, v75, -v31
	v_fmac_f32_e32 v32, 0x3f0a6770, v69
	v_fma_f32 v37, 0xbf27a4f4, v75, -v30
	v_add_f32_e32 v73, v73, v36
	v_add_f32_e32 v28, v29, v43
	v_mul_f32_e32 v36, 0xbf27a4f4, v76
	v_add_f32_e32 v29, v33, v39
	v_fmamk_f32 v33, v75, 0xbf27a4f4, v30
	v_add_f32_e32 v30, v31, v40
	v_add_f32_e32 v31, v32, v41
	;; [unrolled: 1-line block ×3, first 2 shown]
	v_mul_f32_e32 v37, 0x3f68dda4, v72
	v_add_f32_e32 v38, v212, v44
	v_fmamk_f32 v35, v69, 0x3f4178ce, v36
	v_fmac_f32_e32 v36, 0xbf4178ce, v69
	v_add_f32_e32 v39, v213, v45
	v_fmamk_f32 v41, v75, 0x3ed4b147, v37
	v_add_f32_e32 v38, v38, v58
	v_add_f32_e32 v34, v33, v42
	v_mul_f32_e32 v40, 0x3ed4b147, v76
	v_add_f32_e32 v33, v36, v65
	v_add_f32_e32 v39, v39, v59
	;; [unrolled: 1-line block ×3, first 2 shown]
	v_fma_f32 v41, 0x3ed4b147, v75, -v37
	v_add_f32_e32 v43, v38, v55
	v_fmamk_f32 v42, v69, 0xbf68dda4, v40
	v_add_f32_e32 v39, v39, v54
	v_fmac_f32_e32 v40, 0x3f68dda4, v69
	v_add_f32_e32 v38, v41, v64
	v_add_f32_e32 v41, v43, v52
	v_add_f32_e32 v37, v42, v71
	v_mul_f32_e32 v42, 0xbf7d64f0, v72
	v_add_f32_e32 v39, v39, v50
	v_mul_f32_e32 v64, 0xbe11bafb, v76
	v_add_f32_e32 v41, v41, v46
	v_add_f32_e32 v35, v35, v67
	v_fmamk_f32 v43, v75, 0xbe11bafb, v42
	v_add_f32_e32 v65, v39, v48
	v_add_f32_e32 v39, v40, v70
	;; [unrolled: 1-line block ×5, first 2 shown]
	v_fmamk_f32 v43, v69, 0x3f7d64f0, v64
	v_add_f32_e32 v65, v65, v49
	v_fmac_f32_e32 v64, 0xbf7d64f0, v69
	v_add_f32_e32 v66, v66, v51
	v_add_f32_e32 v69, v45, v63
	;; [unrolled: 1-line block ×5, first 2 shown]
	v_sub_f32_e32 v64, v45, v63
	v_add_f32_e32 v66, v66, v56
	v_fma_f32 v42, 0xbe11bafb, v75, -v42
	v_add_f32_e32 v65, v65, v57
	v_mul_f32_e32 v71, 0x3f575c64, v69
	v_mul_f32_e32 v70, 0xbf0a6770, v64
	v_add_f32_e32 v45, v66, v60
	v_sub_f32_e32 v66, v44, v62
	v_add_f32_e32 v65, v65, v61
	v_mul_f32_e32 v73, 0x3ed4b147, v69
	v_fmamk_f32 v72, v67, 0x3f575c64, v70
	v_add_f32_e32 v44, v45, v62
	v_mul_f32_e32 v62, 0xbf68dda4, v64
	v_mul_f32_e32 v74, 0xbf7d64f0, v64
	v_mul_f32_e32 v76, 0xbe11bafb, v69
	v_mul_f32_e32 v79, 0xbf4178ce, v64
	v_mul_f32_e32 v80, 0xbf27a4f4, v69
	v_mul_f32_e32 v64, 0xbe903f40, v64
	v_mul_f32_e32 v69, 0xbf75a155, v69
	v_sub_f32_e32 v88, v59, v61
	v_add_f32_e32 v59, v59, v61
	v_add_f32_e32 v42, v42, v77
	;; [unrolled: 1-line block ×3, first 2 shown]
	v_fmamk_f32 v63, v66, 0x3f0a6770, v71
	v_add_f32_e32 v65, v212, v72
	v_fma_f32 v70, 0x3f575c64, v67, -v70
	v_fmamk_f32 v72, v67, 0x3ed4b147, v62
	v_fma_f32 v62, 0x3ed4b147, v67, -v62
	v_fmamk_f32 v77, v67, 0xbe11bafb, v74
	v_fma_f32 v74, 0xbe11bafb, v67, -v74
	v_fmamk_f32 v81, v67, 0xbf27a4f4, v79
	v_fma_f32 v79, 0xbf27a4f4, v67, -v79
	v_fmamk_f32 v83, v67, 0xbf75a155, v64
	v_fmamk_f32 v89, v66, 0x3e903f40, v69
	v_fma_f32 v64, 0xbf75a155, v67, -v64
	v_add_f32_e32 v61, v58, v60
	v_mul_f32_e32 v67, 0xbf68dda4, v88
	v_sub_f32_e32 v58, v58, v60
	v_mul_f32_e32 v60, 0x3ed4b147, v59
	v_fmac_f32_e32 v71, 0xbf0a6770, v66
	v_add_f32_e32 v63, v213, v63
	v_add_f32_e32 v70, v212, v70
	v_fmamk_f32 v75, v66, 0x3f68dda4, v73
	v_fmac_f32_e32 v73, 0xbf68dda4, v66
	v_fmamk_f32 v78, v66, 0x3f7d64f0, v76
	v_fmac_f32_e32 v76, 0xbf7d64f0, v66
	;; [unrolled: 2-line block ×3, first 2 shown]
	v_fmac_f32_e32 v69, 0xbe903f40, v66
	v_add_f32_e32 v66, v213, v89
	v_fmamk_f32 v89, v61, 0x3ed4b147, v67
	v_fmamk_f32 v90, v58, 0x3f68dda4, v60
	v_mul_f32_e32 v91, 0xbf4178ce, v88
	v_fma_f32 v67, 0x3ed4b147, v61, -v67
	v_add_f32_e32 v71, v213, v71
	v_add_f32_e32 v72, v212, v72
	;; [unrolled: 1-line block ×3, first 2 shown]
	v_fmac_f32_e32 v60, 0xbf68dda4, v58
	v_add_f32_e32 v63, v90, v63
	v_fmamk_f32 v89, v61, 0xbf27a4f4, v91
	v_mul_f32_e32 v90, 0xbf27a4f4, v59
	v_add_f32_e32 v67, v67, v70
	v_mul_f32_e32 v70, 0x3e903f40, v88
	v_add_f32_e32 v75, v213, v75
	v_add_f32_e32 v62, v212, v62
	;; [unrolled: 1-line block ×5, first 2 shown]
	v_fmamk_f32 v72, v58, 0x3f4178ce, v90
	v_fma_f32 v89, 0xbf27a4f4, v61, -v91
	v_fmamk_f32 v91, v61, 0xbf75a155, v70
	v_mul_f32_e32 v104, 0xbf75a155, v59
	v_add_f32_e32 v78, v213, v78
	v_add_f32_e32 v72, v72, v75
	;; [unrolled: 1-line block ×4, first 2 shown]
	v_fmamk_f32 v77, v58, 0xbe903f40, v104
	v_mul_f32_e32 v89, 0x3f7d64f0, v88
	v_add_f32_e32 v73, v213, v73
	v_add_f32_e32 v81, v212, v81
	v_fmac_f32_e32 v90, 0xbf4178ce, v58
	v_add_f32_e32 v77, v77, v78
	v_fmamk_f32 v78, v61, 0xbe11bafb, v89
	v_add_f32_e32 v74, v212, v74
	v_add_f32_e32 v79, v212, v79
	;; [unrolled: 1-line block ×3, first 2 shown]
	v_fma_f32 v70, 0xbf75a155, v61, -v70
	v_mul_f32_e32 v90, 0xbe11bafb, v59
	v_add_f32_e32 v78, v78, v81
	v_fma_f32 v81, 0xbe11bafb, v61, -v89
	v_add_f32_e32 v82, v213, v82
	v_add_f32_e32 v80, v213, v80
	;; [unrolled: 1-line block ×3, first 2 shown]
	v_fmamk_f32 v74, v58, 0xbf7d64f0, v90
	v_mul_f32_e32 v88, 0x3f0a6770, v88
	v_fmac_f32_e32 v90, 0x3f7d64f0, v58
	v_add_f32_e32 v79, v81, v79
	v_sub_f32_e32 v81, v54, v57
	v_add_f32_e32 v83, v212, v83
	v_add_f32_e32 v74, v74, v82
	v_fmamk_f32 v82, v61, 0x3f575c64, v88
	v_mul_f32_e32 v59, 0x3f575c64, v59
	v_add_f32_e32 v80, v90, v80
	v_add_f32_e32 v89, v55, v56
	v_mul_f32_e32 v90, 0xbf7d64f0, v81
	v_add_f32_e32 v54, v54, v57
	v_add_f32_e32 v64, v212, v64
	;; [unrolled: 1-line block ×3, first 2 shown]
	v_fmac_f32_e32 v104, 0x3e903f40, v58
	v_add_f32_e32 v82, v82, v83
	v_fmamk_f32 v83, v58, 0xbf0a6770, v59
	v_fma_f32 v57, 0x3f575c64, v61, -v88
	v_fmac_f32_e32 v59, 0x3f0a6770, v58
	v_sub_f32_e32 v55, v55, v56
	v_fmamk_f32 v56, v89, 0xbe11bafb, v90
	v_mul_f32_e32 v58, 0xbe11bafb, v54
	v_add_f32_e32 v61, v83, v66
	v_add_f32_e32 v57, v57, v64
	;; [unrolled: 1-line block ×4, first 2 shown]
	v_fmamk_f32 v64, v55, 0x3f7d64f0, v58
	v_mul_f32_e32 v65, 0x3e903f40, v81
	v_fma_f32 v66, 0xbe11bafb, v89, -v90
	v_fmac_f32_e32 v58, 0xbf7d64f0, v55
	v_mul_f32_e32 v69, 0xbf75a155, v54
	v_add_f32_e32 v63, v64, v63
	v_fmamk_f32 v64, v89, 0xbf75a155, v65
	v_add_f32_e32 v66, v66, v67
	v_add_f32_e32 v58, v58, v60
	v_fmamk_f32 v60, v55, 0xbe903f40, v69
	v_mul_f32_e32 v67, 0x3f68dda4, v81
	v_fma_f32 v65, 0xbf75a155, v89, -v65
	v_fmac_f32_e32 v69, 0x3e903f40, v55
	v_add_f32_e32 v76, v213, v76
	v_add_f32_e32 v64, v64, v71
	;; [unrolled: 1-line block ×3, first 2 shown]
	v_fmamk_f32 v71, v89, 0x3ed4b147, v67
	v_mul_f32_e32 v72, 0x3ed4b147, v54
	v_add_f32_e32 v62, v65, v62
	v_add_f32_e32 v65, v69, v73
	v_mul_f32_e32 v69, 0xbf0a6770, v81
	v_add_f32_e32 v76, v104, v76
	v_add_f32_e32 v71, v71, v75
	v_fmamk_f32 v73, v55, 0xbf68dda4, v72
	v_fma_f32 v67, 0x3ed4b147, v89, -v67
	v_fmac_f32_e32 v72, 0x3f68dda4, v55
	v_fmamk_f32 v75, v89, 0x3f575c64, v69
	v_mul_f32_e32 v83, 0x3f575c64, v54
	v_mul_f32_e32 v54, 0xbf27a4f4, v54
	v_fma_f32 v69, 0x3f575c64, v89, -v69
	v_add_f32_e32 v73, v73, v77
	v_add_f32_e32 v67, v67, v70
	;; [unrolled: 1-line block ×4, first 2 shown]
	v_fmamk_f32 v75, v55, 0x3f0a6770, v83
	v_mul_f32_e32 v76, 0xbf4178ce, v81
	v_fmamk_f32 v77, v55, 0x3f4178ce, v54
	v_add_f32_e32 v69, v69, v79
	v_sub_f32_e32 v79, v50, v53
	v_add_f32_e32 v50, v50, v53
	v_add_f32_e32 v74, v75, v74
	v_fmamk_f32 v75, v89, 0xbf27a4f4, v76
	v_add_f32_e32 v61, v77, v61
	v_add_f32_e32 v77, v52, v51
	v_mul_f32_e32 v53, 0xbf4178ce, v79
	v_fma_f32 v76, 0xbf27a4f4, v89, -v76
	v_fmac_f32_e32 v54, 0xbf4178ce, v55
	v_sub_f32_e32 v51, v52, v51
	v_mul_f32_e32 v52, 0xbf27a4f4, v50
	v_fmac_f32_e32 v83, 0xbf0a6770, v55
	v_fmamk_f32 v55, v77, 0xbf27a4f4, v53
	v_add_f32_e32 v57, v76, v57
	v_add_f32_e32 v54, v54, v59
	v_mul_f32_e32 v59, 0x3f7d64f0, v79
	v_fmamk_f32 v76, v51, 0x3f4178ce, v52
	v_fmac_f32_e32 v52, 0xbf4178ce, v51
	v_add_f32_e32 v55, v55, v56
	v_fma_f32 v53, 0xbf27a4f4, v77, -v53
	v_fmamk_f32 v56, v77, 0xbe11bafb, v59
	v_add_f32_e32 v63, v76, v63
	v_mul_f32_e32 v76, 0xbe11bafb, v50
	v_add_f32_e32 v52, v52, v58
	v_mul_f32_e32 v58, 0xbf0a6770, v79
	v_add_f32_e32 v78, v83, v80
	v_add_f32_e32 v53, v53, v66
	;; [unrolled: 1-line block ×3, first 2 shown]
	v_fmamk_f32 v64, v51, 0xbf7d64f0, v76
	v_fma_f32 v59, 0xbe11bafb, v77, -v59
	v_fmac_f32_e32 v76, 0x3f7d64f0, v51
	v_mul_f32_e32 v66, 0x3f575c64, v50
	v_fmamk_f32 v80, v77, 0x3f575c64, v58
	v_add_f32_e32 v60, v64, v60
	v_add_f32_e32 v59, v59, v62
	;; [unrolled: 1-line block ×3, first 2 shown]
	v_fmamk_f32 v64, v51, 0x3f0a6770, v66
	v_add_f32_e32 v65, v80, v71
	v_mul_f32_e32 v71, 0xbe903f40, v79
	v_fma_f32 v58, 0x3f575c64, v77, -v58
	v_fmac_f32_e32 v66, 0xbf0a6770, v51
	v_add_f32_e32 v64, v64, v73
	v_mul_f32_e32 v73, 0xbf75a155, v50
	v_fmamk_f32 v76, v77, 0xbf75a155, v71
	v_add_f32_e32 v58, v58, v67
	v_mul_f32_e32 v67, 0x3f68dda4, v79
	v_add_f32_e32 v75, v75, v82
	v_add_f32_e32 v66, v66, v70
	v_fmamk_f32 v70, v51, 0x3e903f40, v73
	v_add_f32_e32 v72, v76, v72
	v_fma_f32 v71, 0xbf75a155, v77, -v71
	v_fmac_f32_e32 v73, 0xbe903f40, v51
	v_fmamk_f32 v76, v77, 0x3ed4b147, v67
	v_add_f32_e32 v70, v70, v74
	v_mul_f32_e32 v50, 0x3ed4b147, v50
	v_add_f32_e32 v69, v71, v69
	v_add_f32_e32 v71, v73, v78
	;; [unrolled: 1-line block ×3, first 2 shown]
	v_sub_f32_e32 v74, v48, v49
	v_add_f32_e32 v76, v48, v49
	v_fmamk_f32 v75, v51, 0xbf68dda4, v50
	v_fma_f32 v67, 0x3ed4b147, v77, -v67
	v_add_f32_e32 v77, v46, v47
	v_mul_f32_e32 v48, 0xbe903f40, v74
	v_fmac_f32_e32 v50, 0x3f68dda4, v51
	v_sub_f32_e32 v78, v46, v47
	v_mul_f32_e32 v49, 0xbf75a155, v76
	v_mul_f32_e32 v51, 0x3f0a6770, v74
	v_fmamk_f32 v46, v77, 0xbf75a155, v48
	v_add_f32_e32 v79, v50, v54
	v_fma_f32 v48, 0xbf75a155, v77, -v48
	v_fmamk_f32 v47, v78, 0x3e903f40, v49
	v_fmac_f32_e32 v49, 0xbe903f40, v78
	v_mul_f32_e32 v54, 0x3f575c64, v76
	v_add_f32_e32 v46, v46, v55
	v_fmamk_f32 v50, v77, 0x3f575c64, v51
	v_add_f32_e32 v48, v48, v53
	v_add_f32_e32 v49, v49, v52
	v_mul_f32_e32 v55, 0xbf4178ce, v74
	v_fmamk_f32 v52, v78, 0xbf0a6770, v54
	v_fma_f32 v53, 0x3f575c64, v77, -v51
	v_add_f32_e32 v67, v67, v57
	v_add_f32_e32 v50, v50, v56
	v_fmac_f32_e32 v54, 0x3f0a6770, v78
	v_fmamk_f32 v56, v77, 0xbf27a4f4, v55
	v_mul_f32_e32 v57, 0xbf27a4f4, v76
	v_add_f32_e32 v51, v52, v60
	v_add_f32_e32 v52, v53, v59
	v_mul_f32_e32 v59, 0x3f68dda4, v74
	v_add_f32_e32 v75, v75, v61
	v_add_f32_e32 v53, v54, v62
	;; [unrolled: 1-line block ×3, first 2 shown]
	v_fmamk_f32 v56, v78, 0x3f4178ce, v57
	v_fma_f32 v60, 0xbf27a4f4, v77, -v55
	v_mul_f32_e32 v61, 0x3ed4b147, v76
	v_fmamk_f32 v62, v77, 0x3ed4b147, v59
	v_add_f32_e32 v47, v47, v63
	v_fmac_f32_e32 v57, 0xbf4178ce, v78
	v_add_f32_e32 v55, v56, v64
	v_add_f32_e32 v56, v60, v58
	v_fmamk_f32 v60, v78, 0xbf68dda4, v61
	v_fma_f32 v63, 0x3ed4b147, v77, -v59
	v_add_f32_e32 v58, v62, v72
	v_mul_f32_e32 v62, 0xbf7d64f0, v74
	v_mul_f32_e32 v65, 0xbe11bafb, v76
	v_add_f32_e32 v57, v57, v66
	v_add_f32_e32 v59, v60, v70
	;; [unrolled: 1-line block ×3, first 2 shown]
	v_fmamk_f32 v63, v77, 0xbe11bafb, v62
	v_fmamk_f32 v64, v78, 0x3f7d64f0, v65
	v_fma_f32 v66, 0xbe11bafb, v77, -v62
	v_fmac_f32_e32 v61, 0x3f68dda4, v78
	v_fmac_f32_e32 v65, 0xbf7d64f0, v78
	v_add_f32_e32 v62, v63, v73
	v_add_f32_e32 v63, v64, v75
	;; [unrolled: 1-line block ×3, first 2 shown]
	buffer_load_dword v66, off, s[20:23], 0 offset:472 ; 4-byte Folded Reload
	s_waitcnt vmcnt(0)
	ds_write2_b64 v66, v[0:1], v[4:5] offset1:7
	ds_write2_b64 v66, v[6:7], v[12:13] offset0:14 offset1:21
	ds_write2_b64 v66, v[16:17], v[20:21] offset0:28 offset1:35
	;; [unrolled: 1-line block ×4, first 2 shown]
	ds_write_b64 v66, v[2:3] offset:560
	buffer_load_dword v0, off, s[20:23], 0 offset:476 ; 4-byte Folded Reload
	s_waitcnt vmcnt(0)
	ds_write2_b64 v0, v[22:23], v[26:27] offset1:7
	ds_write2_b64 v0, v[28:29], v[34:35] offset0:14 offset1:21
	ds_write2_b64 v0, v[36:37], v[40:41] offset0:28 offset1:35
	ds_write2_b64 v0, v[42:43], v[38:39] offset0:42 offset1:49
	ds_write2_b64 v0, v[32:33], v[30:31] offset0:56 offset1:63
	ds_write_b64 v0, v[24:25] offset:560
	buffer_load_dword v0, off, s[20:23], 0 offset:504 ; 4-byte Folded Reload
	v_add_f32_e32 v61, v61, v71
	v_add_f32_e32 v65, v65, v79
	s_waitcnt vmcnt(0)
	ds_write2_b64 v0, v[44:45], v[46:47] offset1:7
	ds_write2_b64 v0, v[50:51], v[54:55] offset0:14 offset1:21
	ds_write2_b64 v0, v[58:59], v[62:63] offset0:28 offset1:35
	;; [unrolled: 1-line block ×4, first 2 shown]
	ds_write_b64 v0, v[48:49] offset:560
	s_and_saveexec_b32 s0, vcc_lo
	s_cbranch_execz .LBB0_9
; %bb.8:
	s_clause 0x15
	buffer_load_dword v18, off, s[20:23], 0 offset:572
	buffer_load_dword v19, off, s[20:23], 0 offset:576
	;; [unrolled: 1-line block ×22, first 2 shown]
	s_waitcnt vmcnt(17)
	v_mul_f32_e32 v0, v21, v8
	s_waitcnt vmcnt(14)
	v_mul_f32_e32 v1, v3, v210
	;; [unrolled: 2-line block ×4, first 2 shown]
	v_mul_f32_e32 v7, v3, v211
	v_fma_f32 v12, v20, v9, -v0
	v_mul_f32_e32 v0, v19, v29
	v_mul_f32_e32 v11, v21, v9
	v_fma_f32 v9, v2, v211, -v1
	v_mul_f32_e32 v1, v5, v23
	v_fmac_f32_e32 v14, v4, v23
	v_fma_f32 v13, v18, v30, -v0
	s_clause 0xb
	buffer_load_dword v30, off, s[20:23], 0 offset:524
	buffer_load_dword v31, off, s[20:23], 0 offset:528
	;; [unrolled: 1-line block ×12, first 2 shown]
	s_waitcnt vmcnt(12)
	v_mul_f32_e32 v23, v37, v28
	v_fmac_f32_e32 v7, v2, v210
	v_mul_f32_e32 v2, v37, v27
	v_fmac_f32_e32 v11, v20, v8
	v_add_f32_e32 v8, v12, v9
	v_fmac_f32_e32 v23, v36, v27
	v_fma_f32 v10, v4, v24, -v1
	v_fmac_f32_e32 v15, v18, v29
	v_sub_f32_e32 v19, v7, v11
	v_mul_f32_e32 v16, 0xbf75a155, v8
	v_fma_f32 v20, v36, v28, -v2
	v_add_f32_e32 v17, v13, v10
	v_sub_f32_e32 v0, v14, v15
	v_add_f32_e32 v39, v11, v7
	v_fmamk_f32 v1, v19, 0x3e903f40, v16
	v_sub_f32_e32 v42, v10, v13
	v_mul_f32_e32 v18, 0x3f575c64, v17
	v_mul_f32_e32 v55, 0xbe11bafb, v17
	v_mul_f32_e32 v64, 0xbe11bafb, v8
	v_add_f32_e32 v1, v209, v1
	v_mul_f32_e32 v61, 0x3f7d64f0, v42
	v_fmamk_f32 v4, v0, 0xbf0a6770, v18
	v_mul_f32_e32 v67, 0xbf75a155, v17
	v_mul_f32_e32 v74, 0x3e903f40, v42
	;; [unrolled: 1-line block ×4, first 2 shown]
	v_add_f32_e32 v1, v4, v1
	v_fmamk_f32 v69, v0, 0xbe903f40, v67
	v_mul_f32_e32 v90, 0xbf4178ce, v42
	v_mul_f32_e32 v104, 0x3f575c64, v8
	v_fmamk_f32 v81, v0, 0x3f4178ce, v79
	v_mul_f32_e32 v105, 0x3ed4b147, v17
	v_fmac_f32_e32 v16, 0xbe903f40, v19
	v_fmac_f32_e32 v18, 0x3f0a6770, v0
	;; [unrolled: 1-line block ×4, first 2 shown]
	v_add_f32_e32 v16, v209, v16
	s_waitcnt vmcnt(10)
	v_mul_f32_e32 v3, v31, v25
	v_mul_f32_e32 v22, v31, v26
	s_waitcnt vmcnt(2)
	v_mul_f32_e32 v27, v33, v46
	v_mul_f32_e32 v2, v35, v51
	v_mul_f32_e32 v28, v35, v52
	v_fma_f32 v21, v30, v26, -v3
	v_mul_f32_e32 v3, v33, v45
	v_fmac_f32_e32 v27, v32, v45
	v_fmac_f32_e32 v22, v30, v25
	v_fma_f32 v25, v34, v52, -v2
	v_add_f32_e32 v24, v20, v21
	v_fma_f32 v26, v32, v46, -v3
	s_clause 0x3
	buffer_load_dword v43, off, s[20:23], 0 offset:508
	buffer_load_dword v44, off, s[20:23], 0 offset:512
	;; [unrolled: 1-line block ×4, first 2 shown]
	v_sub_f32_e32 v30, v22, v23
	v_fmac_f32_e32 v28, v34, v51
	v_mul_f32_e32 v29, 0xbf27a4f4, v24
	v_add_f32_e32 v31, v25, v26
	v_sub_f32_e32 v35, v9, v12
	v_mul_f32_e32 v51, 0xbf27a4f4, v8
	v_sub_f32_e32 v33, v27, v28
	v_fmamk_f32 v2, v30, 0x3f4178ce, v29
	v_mul_f32_e32 v32, 0x3ed4b147, v31
	v_mul_f32_e32 v40, 0xbe903f40, v35
	v_add_f32_e32 v52, v28, v27
	v_mul_f32_e32 v58, 0x3f575c64, v24
	v_add_f32_e32 v1, v2, v1
	v_fmamk_f32 v2, v33, 0xbf68dda4, v32
	v_mul_f32_e32 v59, 0xbf4178ce, v35
	v_mul_f32_e32 v60, 0xbf75a155, v31
	;; [unrolled: 1-line block ×4, first 2 shown]
	v_add_f32_e32 v1, v2, v1
	v_fmamk_f32 v2, v39, 0xbf75a155, v40
	v_mul_f32_e32 v73, 0x3f575c64, v31
	v_fmamk_f32 v72, v30, 0xbf68dda4, v70
	v_mul_f32_e32 v82, 0xbf75a155, v24
	v_mul_f32_e32 v88, 0xbe11bafb, v31
	v_add_f32_e32 v2, v208, v2
	v_mul_f32_e32 v24, 0xbe11bafb, v24
	v_add_f32_e32 v9, v9, v209
	v_mul_f32_e32 v31, 0xbf27a4f4, v31
	v_fmac_f32_e32 v29, 0xbf4178ce, v30
	v_fmac_f32_e32 v32, 0x3f68dda4, v33
	;; [unrolled: 1-line block ×3, first 2 shown]
	v_add_f32_e32 v9, v10, v9
	v_fmamk_f32 v10, v33, 0x3f4178ce, v31
	v_fmac_f32_e32 v31, 0xbf4178ce, v33
	v_add_f32_e32 v9, v21, v9
	v_add_f32_e32 v9, v26, v9
	s_waitcnt vmcnt(0)
	v_mul_f32_e32 v3, v46, v49
	v_mul_f32_e32 v4, v44, v47
	;; [unrolled: 1-line block ×5, first 2 shown]
	v_fma_f32 v34, v45, v50, -v3
	v_fma_f32 v36, v43, v48, -v4
	v_fmac_f32_e32 v37, v43, v47
	v_fmac_f32_e32 v38, v45, v49
	v_add_f32_e32 v43, v15, v14
	v_sub_f32_e32 v46, v21, v20
	v_add_f32_e32 v41, v34, v36
	v_add_f32_e32 v48, v23, v22
	v_sub_f32_e32 v47, v37, v38
	v_fmamk_f32 v3, v43, 0x3f575c64, v44
	v_mul_f32_e32 v49, 0xbf4178ce, v46
	v_mul_f32_e32 v45, 0xbe11bafb, v41
	v_sub_f32_e32 v50, v26, v25
	v_sub_f32_e32 v54, v36, v34
	v_add_f32_e32 v3, v3, v2
	v_fmamk_f32 v5, v48, 0xbf27a4f4, v49
	v_fmamk_f32 v4, v47, 0x3f7d64f0, v45
	v_mul_f32_e32 v53, 0x3f68dda4, v50
	v_add_f32_e32 v56, v38, v37
	v_mul_f32_e32 v57, 0xbf7d64f0, v54
	v_mul_f32_e32 v62, 0x3ed4b147, v41
	v_add_f32_e32 v2, v4, v1
	v_add_f32_e32 v1, v5, v3
	v_fmamk_f32 v3, v19, 0x3f4178ce, v51
	v_fmamk_f32 v4, v52, 0x3ed4b147, v53
	;; [unrolled: 1-line block ×4, first 2 shown]
	v_mul_f32_e32 v63, 0xbf0a6770, v46
	v_add_f32_e32 v3, v209, v3
	v_add_f32_e32 v1, v4, v1
	v_fmamk_f32 v4, v56, 0xbe11bafb, v57
	v_mul_f32_e32 v66, 0xbe903f40, v50
	v_fmamk_f32 v65, v48, 0x3f575c64, v63
	v_add_f32_e32 v3, v5, v3
	v_fmamk_f32 v5, v30, 0x3f0a6770, v58
	v_add_f32_e32 v1, v4, v1
	v_fmamk_f32 v4, v39, 0xbf27a4f4, v59
	v_fmamk_f32 v75, v43, 0xbf75a155, v74
	v_mul_f32_e32 v76, 0x3f68dda4, v46
	v_add_f32_e32 v3, v5, v3
	v_fmamk_f32 v5, v33, 0x3e903f40, v60
	v_add_f32_e32 v4, v208, v4
	v_mul_f32_e32 v78, 0xbf0a6770, v50
	v_mul_f32_e32 v80, 0xbf4178ce, v54
	;; [unrolled: 1-line block ×3, first 2 shown]
	v_add_f32_e32 v3, v5, v3
	v_fmamk_f32 v5, v47, 0xbf68dda4, v62
	v_add_f32_e32 v6, v6, v4
	v_fmamk_f32 v83, v56, 0xbf27a4f4, v80
	v_add_f32_e32 v9, v36, v9
	v_mul_f32_e32 v21, 0xbf68dda4, v42
	v_add_f32_e32 v4, v5, v3
	v_fmamk_f32 v3, v19, 0x3f7d64f0, v64
	v_add_f32_e32 v5, v65, v6
	v_fmamk_f32 v6, v52, 0xbf75a155, v66
	v_mul_f32_e32 v65, 0x3f68dda4, v54
	v_add_f32_e32 v9, v34, v9
	v_add_f32_e32 v3, v209, v3
	v_fmamk_f32 v26, v43, 0x3ed4b147, v21
	v_add_f32_e32 v5, v6, v5
	v_fmamk_f32 v6, v56, 0x3ed4b147, v65
	v_add_f32_e32 v9, v25, v9
	v_add_f32_e32 v69, v69, v3
	v_mul_f32_e32 v34, 0xbf4178ce, v50
	v_fmac_f32_e32 v45, 0xbf7d64f0, v47
	v_add_f32_e32 v3, v6, v5
	v_fmamk_f32 v5, v39, 0xbe11bafb, v71
	v_add_f32_e32 v6, v72, v69
	v_fmamk_f32 v69, v33, 0x3f0a6770, v73
	v_mul_f32_e32 v72, 0xbf27a4f4, v41
	v_add_f32_e32 v9, v20, v9
	v_add_f32_e32 v5, v208, v5
	v_fmamk_f32 v25, v52, 0xbf27a4f4, v34
	v_add_f32_e32 v6, v69, v6
	v_fmamk_f32 v69, v47, 0x3f4178ce, v72
	v_add_f32_e32 v13, v13, v9
	v_add_f32_e32 v5, v75, v5
	v_fmamk_f32 v75, v48, 0x3ed4b147, v76
	v_fmac_f32_e32 v64, 0xbf7d64f0, v19
	v_add_f32_e32 v6, v69, v6
	v_fmamk_f32 v69, v19, 0x3f68dda4, v77
	v_add_f32_e32 v12, v12, v13
	v_add_f32_e32 v5, v75, v5
	v_fmamk_f32 v75, v52, 0x3f575c64, v78
	v_fma_f32 v13, 0xbf75a155, v39, -v40
	v_add_f32_e32 v69, v209, v69
	v_fmac_f32_e32 v73, 0xbf0a6770, v33
	v_fmac_f32_e32 v72, 0xbf4178ce, v47
	v_add_f32_e32 v5, v75, v5
	v_mul_f32_e32 v75, 0xbf68dda4, v35
	v_add_f32_e32 v69, v81, v69
	v_fmamk_f32 v81, v30, 0xbe903f40, v82
	v_mul_f32_e32 v35, 0xbf0a6770, v35
	v_add_f32_e32 v5, v83, v5
	v_fmamk_f32 v89, v39, 0x3ed4b147, v75
	v_add_f32_e32 v13, v208, v13
	v_add_f32_e32 v69, v81, v69
	v_fmamk_f32 v81, v33, 0xbf7d64f0, v88
	v_fmac_f32_e32 v51, 0xbf4178ce, v19
	v_add_f32_e32 v83, v208, v89
	v_fmamk_f32 v89, v43, 0xbf27a4f4, v90
	v_fmac_f32_e32 v77, 0xbf68dda4, v19
	v_add_f32_e32 v8, v81, v69
	v_mul_f32_e32 v69, 0x3f575c64, v41
	v_fmac_f32_e32 v55, 0x3f7d64f0, v0
	v_add_f32_e32 v81, v89, v83
	v_fmamk_f32 v83, v48, 0xbf75a155, v91
	v_fmamk_f32 v89, v19, 0x3f0a6770, v104
	;; [unrolled: 1-line block ×3, first 2 shown]
	v_fmac_f32_e32 v104, 0xbf0a6770, v19
	v_mul_f32_e32 v106, 0x3f7d64f0, v50
	v_add_f32_e32 v81, v83, v81
	v_add_f32_e32 v83, v209, v89
	v_fmamk_f32 v89, v0, 0x3f68dda4, v105
	v_add_f32_e32 v8, v17, v8
	v_fmac_f32_e32 v105, 0xbf68dda4, v0
	v_fmac_f32_e32 v58, 0xbf0a6770, v30
	;; [unrolled: 1-line block ×3, first 2 shown]
	v_add_f32_e32 v17, v89, v83
	v_fmamk_f32 v83, v30, 0x3f7d64f0, v24
	v_fmac_f32_e32 v24, 0xbf7d64f0, v30
	v_fmamk_f32 v107, v52, 0xbe11bafb, v106
	v_mul_f32_e32 v108, 0x3f0a6770, v54
	v_fmac_f32_e32 v60, 0xbe903f40, v33
	v_add_f32_e32 v17, v83, v17
	v_add_f32_e32 v83, v208, v7
	v_fmac_f32_e32 v88, 0x3f7d64f0, v33
	v_add_f32_e32 v81, v107, v81
	v_fmamk_f32 v89, v56, 0x3f575c64, v108
	v_add_f32_e32 v10, v10, v17
	v_add_f32_e32 v14, v14, v83
	v_fmamk_f32 v17, v39, 0x3f575c64, v35
	v_fmac_f32_e32 v62, 0x3f68dda4, v47
	v_fmac_f32_e32 v69, 0x3f0a6770, v47
	v_add_f32_e32 v7, v89, v81
	v_add_f32_e32 v14, v22, v14
	;; [unrolled: 1-line block ×3, first 2 shown]
	v_mul_f32_e32 v22, 0xbf75a155, v41
	v_add_f32_e32 v14, v27, v14
	v_mul_f32_e32 v27, 0xbf7d64f0, v46
	v_add_f32_e32 v17, v26, v17
	v_fmamk_f32 v36, v47, 0x3e903f40, v22
	v_fmac_f32_e32 v22, 0xbe903f40, v47
	v_add_f32_e32 v14, v37, v14
	v_fmamk_f32 v26, v48, 0xbe11bafb, v27
	v_add_f32_e32 v10, v36, v10
	v_add_f32_e32 v14, v38, v14
	;; [unrolled: 1-line block ×3, first 2 shown]
	v_mul_f32_e32 v26, 0xbe903f40, v54
	v_add_f32_e32 v14, v28, v14
	v_add_f32_e32 v17, v25, v17
	v_fmamk_f32 v20, v56, 0xbf75a155, v26
	v_fma_f32 v25, 0x3ed4b147, v39, -v75
	v_fma_f32 v28, 0xbf27a4f4, v56, -v80
	v_add_f32_e32 v14, v23, v14
	v_fma_f32 v23, 0xbf75a155, v43, -v74
	v_add_f32_e32 v9, v20, v17
	;; [unrolled: 2-line block ×3, first 2 shown]
	v_add_f32_e32 v14, v15, v14
	v_add_f32_e32 v15, v18, v16
	v_fma_f32 v18, 0xbe11bafb, v43, -v61
	v_add_f32_e32 v16, v209, v51
	v_add_f32_e32 v20, v67, v20
	v_add_f32_e32 v11, v11, v14
	v_fma_f32 v14, 0x3f575c64, v43, -v44
	v_add_f32_e32 v15, v29, v15
	;; [unrolled: 4-line block ×3, first 2 shown]
	v_fma_f32 v14, 0xbf27a4f4, v48, -v49
	v_add_f32_e32 v15, v32, v15
	v_add_f32_e32 v20, v73, v20
	;; [unrolled: 1-line block ×5, first 2 shown]
	v_fma_f32 v15, 0xbf27a4f4, v39, -v59
	v_add_f32_e32 v16, v60, v16
	v_add_f32_e32 v13, v17, v13
	v_fma_f32 v17, 0xbe11bafb, v56, -v57
	v_add_f32_e32 v15, v208, v15
	v_add_f32_e32 v16, v62, v16
	;; [unrolled: 1-line block ×4, first 2 shown]
	v_fma_f32 v17, 0x3f575c64, v48, -v63
	v_fma_f32 v18, 0xbe11bafb, v39, -v71
	v_add_f32_e32 v15, v17, v15
	v_fma_f32 v17, 0xbf75a155, v52, -v66
	v_add_f32_e32 v18, v208, v18
	v_add_f32_e32 v15, v17, v15
	v_fma_f32 v17, 0x3ed4b147, v56, -v65
	v_add_f32_e32 v18, v23, v18
	v_fma_f32 v23, 0x3ed4b147, v48, -v76
	v_add_f32_e32 v15, v17, v15
	v_add_f32_e32 v17, v23, v18
	v_fma_f32 v18, 0x3f575c64, v52, -v78
	v_add_f32_e32 v23, v209, v77
	v_add_f32_e32 v17, v18, v17
	;; [unrolled: 1-line block ×4, first 2 shown]
	v_fma_f32 v25, 0xbf27a4f4, v43, -v90
	v_add_f32_e32 v23, v79, v23
	v_add_f32_e32 v17, v28, v17
	;; [unrolled: 1-line block ×4, first 2 shown]
	v_fma_f32 v20, 0xbf75a155, v48, -v91
	v_fma_f32 v25, 0x3f575c64, v39, -v35
	v_add_f32_e32 v23, v82, v23
	v_add_f32_e32 v0, v20, v19
	;; [unrolled: 1-line block ×3, first 2 shown]
	v_fma_f32 v20, 0x3ed4b147, v43, -v21
	v_fma_f32 v21, 0xbe11bafb, v52, -v106
	v_add_f32_e32 v25, v105, v28
	v_add_f32_e32 v23, v88, v23
	;; [unrolled: 1-line block ×3, first 2 shown]
	v_fma_f32 v20, 0xbe11bafb, v48, -v27
	buffer_load_dword v27, off, s[20:23], 0 offset:368 ; 4-byte Folded Reload
	v_add_f32_e32 v0, v21, v0
	v_add_f32_e32 v21, v24, v25
	v_mov_b32_e32 v24, 0x4d
	v_add_f32_e32 v19, v20, v19
	v_fma_f32 v20, 0xbf27a4f4, v52, -v34
	v_fma_f32 v25, 0x3f575c64, v56, -v108
	v_add_f32_e32 v21, v31, v21
	v_add_f32_e32 v22, v22, v21
	s_waitcnt vmcnt(0)
	v_mul_u32_u24_sdwa v24, v27, v24 dst_sel:DWORD dst_unused:UNUSED_PAD src0_sel:WORD_0 src1_sel:DWORD
	v_add_f32_e32 v27, v20, v19
	buffer_load_dword v19, off, s[20:23], 0 offset:364 ; 4-byte Folded Reload
	v_add_f32_e32 v20, v69, v23
	v_add_f32_e32 v21, v26, v27
	s_waitcnt vmcnt(0)
	v_add_lshl_u32 v24, v24, v19, 3
	v_add_f32_e32 v19, v25, v0
	ds_write2_b64 v24, v[11:12], v[9:10] offset1:7
	ds_write2_b64 v24, v[7:8], v[5:6] offset0:14 offset1:21
	ds_write2_b64 v24, v[3:4], v[1:2] offset0:28 offset1:35
	;; [unrolled: 1-line block ×4, first 2 shown]
	ds_write_b64 v24, v[21:22] offset:560
.LBB0_9:
	s_or_b32 exec_lo, exec_lo, s0
	v_add_nc_u32_e32 v39, 0x800, v68
	s_waitcnt lgkmcnt(0)
	s_barrier
	buffer_gl0_inv
	v_add_nc_u32_e32 v45, 0x1800, v68
	ds_read2_b64 v[0:3], v39 offset0:74 offset1:129
	v_add_nc_u32_e32 v41, 0x2000, v68
	v_add_nc_u32_e32 v38, 0x3000, v68
	ds_read2_b64 v[12:15], v45 offset0:2 offset1:57
	ds_read2_b64 v[16:19], v41 offset0:76 offset1:131
	;; [unrolled: 1-line block ×3, first 2 shown]
	ds_read2_b64 v[8:11], v68 offset1:55
	ds_read2_b64 v[4:7], v68 offset0:110 offset1:165
	v_add_nc_u32_e32 v43, 0x1000, v68
	ds_read2_b64 v[24:27], v39 offset0:184 offset1:239
	ds_read2_b64 v[28:31], v41 offset0:186 offset1:241
	ds_read2_b64 v[32:35], v45 offset0:112 offset1:167
	ds_read2_b64 v[47:50], v38 offset0:114 offset1:169
	ds_read2_b64 v[51:54], v43 offset0:38 offset1:93
	v_add_nc_u32_e32 v44, 0x2800, v68
	v_add_nc_u32_e32 v46, 0x400, v68
	s_mov_b32 s0, 0xebc93598
	s_mov_b32 s1, 0x3f4105b7
	s_mul_i32 s2, s5, 0x898
	ds_read2_b64 v[55:58], v44 offset0:40 offset1:95
	s_mul_hi_u32 s3, s4, 0x898
	s_add_i32 s2, s3, s2
	s_mul_i32 s3, s4, 0x898
	s_waitcnt lgkmcnt(11)
	v_mul_f32_e32 v36, v101, v3
	v_mul_f32_e32 v37, v101, v2
	s_waitcnt lgkmcnt(10)
	v_mul_f32_e32 v40, v103, v12
	s_waitcnt lgkmcnt(9)
	v_mul_f32_e32 v76, v97, v19
	v_mul_f32_e32 v42, v97, v18
	v_fmac_f32_e32 v36, v100, v2
	s_waitcnt lgkmcnt(8)
	v_mul_f32_e32 v2, v99, v20
	v_fma_f32 v37, v100, v3, -v37
	s_waitcnt lgkmcnt(5)
	v_mul_f32_e32 v3, v93, v24
	v_mul_f32_e32 v77, v99, v21
	v_fma_f32 v78, v102, v13, -v40
	v_fma_f32 v80, v98, v21, -v2
	v_mul_f32_e32 v2, v95, v14
	v_add_nc_u32_e32 v40, 0x1c00, v68
	v_fma_f32 v88, v92, v25, -v3
	v_mul_f32_e32 v89, v87, v23
	s_waitcnt lgkmcnt(4)
	v_mul_f32_e32 v3, v85, v28
	v_fma_f32 v83, v94, v15, -v2
	v_mul_f32_e32 v2, v87, v22
	v_mul_f32_e32 v87, v85, v29
	v_fmac_f32_e32 v76, v96, v18
	v_fma_f32 v79, v96, v19, -v42
	v_fmac_f32_e32 v77, v98, v20
	v_fma_f32 v85, v86, v23, -v2
	v_mul_f32_e32 v2, v145, v26
	v_mul_f32_e32 v82, v93, v25
	ds_read2_b64 v[18:21], v40 offset0:94 offset1:149
	v_add_nc_u32_e32 v42, 0x3400, v68
	v_fmac_f32_e32 v87, v84, v28
	v_fma_f32 v84, v84, v29, -v3
	v_fma_f32 v90, v144, v27, -v2
	s_waitcnt lgkmcnt(4)
	v_mul_f32_e32 v2, v147, v32
	v_mul_f32_e32 v3, v141, v30
	v_fmac_f32_e32 v82, v92, v24
	v_fmac_f32_e32 v89, v86, v22
	ds_read2_b64 v[22:25], v42 offset0:96 offset1:151
	v_mul_f32_e32 v75, v103, v13
	v_mul_f32_e32 v81, v95, v15
	;; [unrolled: 1-line block ×5, first 2 shown]
	v_fma_f32 v93, v146, v33, -v2
	v_fma_f32 v95, v140, v31, -v3
	s_waitcnt lgkmcnt(4)
	v_mul_f32_e32 v2, v143, v47
	v_mul_f32_e32 v73, v139, v35
	;; [unrolled: 1-line block ×3, first 2 shown]
	v_fmac_f32_e32 v75, v102, v12
	v_fmac_f32_e32 v81, v94, v14
	ds_read2_b64 v[12:15], v46 offset0:92 offset1:147
	v_fmac_f32_e32 v86, v144, v26
	v_fmac_f32_e32 v91, v146, v32
	v_fmac_f32_e32 v92, v140, v30
	v_fma_f32 v96, v142, v48, -v2
	s_waitcnt lgkmcnt(4)
	v_mul_f32_e32 v2, v137, v51
	v_fmac_f32_e32 v73, v138, v34
	v_fma_f32 v72, v138, v35, -v3
	ds_read2_b64 v[26:29], v43 offset0:148 offset1:203
	ds_read2_b64 v[30:33], v44 offset0:150 offset1:205
	ds_read_b64 v[34:35], v68 offset:14960
	v_mul_f32_e32 v3, v151, v49
	v_fma_f32 v74, v136, v52, -v2
	s_waitcnt lgkmcnt(6)
	v_mul_f32_e32 v2, v149, v55
	v_mul_f32_e32 v98, v151, v50
	s_waitcnt lgkmcnt(5)
	v_mul_f32_e32 v65, v131, v19
	v_fma_f32 v100, v150, v50, -v3
	v_mul_f32_e32 v3, v131, v18
	v_fma_f32 v101, v148, v56, -v2
	v_mul_f32_e32 v2, v129, v53
	v_mul_f32_e32 v94, v143, v48
	;; [unrolled: 1-line block ×3, first 2 shown]
	v_fma_f32 v64, v130, v19, -v3
	s_waitcnt lgkmcnt(4)
	v_mul_f32_e32 v3, v127, v22
	v_fma_f32 v63, v128, v54, -v2
	v_mul_f32_e32 v2, v125, v57
	v_fmac_f32_e32 v98, v150, v49
	v_mul_f32_e32 v66, v125, v58
	v_fma_f32 v69, v126, v23, -v3
	s_waitcnt lgkmcnt(1)
	v_mul_f32_e32 v3, v113, v30
	v_fma_f32 v67, v124, v58, -v2
	v_mul_f32_e32 v2, v123, v20
	v_fmac_f32_e32 v65, v130, v18
	v_mul_f32_e32 v18, v121, v26
	v_fma_f32 v58, v112, v31, -v3
	v_mul_f32_e32 v3, v133, v28
	v_mul_f32_e32 v49, v135, v17
	v_fma_f32 v56, v122, v21, -v2
	v_mul_f32_e32 v2, v115, v24
	v_fmac_f32_e32 v94, v142, v47
	v_mul_f32_e32 v97, v137, v52
	v_fmac_f32_e32 v99, v148, v55
	v_fma_f32 v55, v120, v27, -v18
	v_mul_f32_e32 v18, v135, v16
	v_fma_f32 v47, v132, v29, -v3
	v_fmac_f32_e32 v49, v134, v16
	v_mul_f32_e32 v3, v117, v32
	v_add_f32_e32 v16, v8, v36
	v_mul_f32_e32 v71, v127, v23
	v_fma_f32 v61, v114, v25, -v2
	v_add_f32_e32 v2, v75, v76
	v_fmac_f32_e32 v97, v136, v51
	v_fmac_f32_e32 v66, v124, v57
	v_mul_f32_e32 v57, v123, v21
	v_fma_f32 v51, v116, v33, -v3
	v_add_f32_e32 v3, v16, v75
	v_mul_f32_e32 v70, v129, v54
	v_fmac_f32_e32 v71, v126, v22
	v_fma_f32 v48, v134, v17, -v18
	v_fma_f32 v2, -0.5, v2, v8
	v_sub_f32_e32 v17, v37, v80
	v_add_f32_e32 v21, v36, v77
	s_waitcnt lgkmcnt(0)
	v_mul_f32_e32 v22, v119, v34
	v_mul_f32_e32 v62, v115, v25
	v_fmac_f32_e32 v57, v122, v20
	v_sub_f32_e32 v18, v36, v75
	v_sub_f32_e32 v20, v77, v76
	v_add_f32_e32 v3, v3, v76
	v_fmac_f32_e32 v70, v128, v53
	v_fmamk_f32 v16, v17, 0xbf737871, v2
	v_sub_f32_e32 v19, v78, v79
	v_fma_f32 v8, -0.5, v21, v8
	v_fma_f32 v53, v118, v35, -v22
	v_fmac_f32_e32 v2, 0x3f737871, v17
	v_add_f32_e32 v22, v9, v37
	v_fmac_f32_e32 v62, v114, v24
	v_add_f32_e32 v23, v18, v20
	v_add_f32_e32 v20, v3, v77
	v_sub_f32_e32 v3, v75, v36
	v_sub_f32_e32 v21, v76, v77
	v_add_f32_e32 v24, v78, v79
	v_mul_f32_e32 v60, v121, v27
	v_fmac_f32_e32 v16, 0xbf167918, v19
	v_fmamk_f32 v18, v19, 0x3f737871, v8
	v_fmac_f32_e32 v2, 0x3f167918, v19
	v_fmac_f32_e32 v8, 0xbf737871, v19
	v_add_f32_e32 v19, v22, v78
	v_add_f32_e32 v22, v37, v80
	;; [unrolled: 1-line block ×3, first 2 shown]
	v_fma_f32 v3, -0.5, v24, v9
	v_sub_f32_e32 v25, v36, v77
	v_fmac_f32_e32 v60, v120, v26
	v_fmac_f32_e32 v16, 0x3e9e377a, v23
	;; [unrolled: 1-line block ×5, first 2 shown]
	v_add_f32_e32 v19, v19, v79
	v_sub_f32_e32 v23, v75, v76
	v_sub_f32_e32 v24, v37, v78
	;; [unrolled: 1-line block ×3, first 2 shown]
	v_fma_f32 v9, -0.5, v22, v9
	v_fmamk_f32 v17, v25, 0x3f737871, v3
	v_fmac_f32_e32 v18, 0x3e9e377a, v21
	v_fmac_f32_e32 v8, 0x3e9e377a, v21
	v_add_f32_e32 v21, v19, v80
	v_add_f32_e32 v24, v24, v26
	v_fmamk_f32 v19, v23, 0xbf737871, v9
	v_sub_f32_e32 v22, v78, v37
	v_sub_f32_e32 v26, v79, v80
	v_fmac_f32_e32 v9, 0x3f737871, v23
	v_fmac_f32_e32 v3, 0xbf737871, v25
	;; [unrolled: 1-line block ×4, first 2 shown]
	v_add_f32_e32 v26, v22, v26
	v_fmac_f32_e32 v9, 0xbf167918, v25
	v_fmac_f32_e32 v3, 0xbf167918, v23
	;; [unrolled: 1-line block ×6, first 2 shown]
	s_barrier
	buffer_gl0_inv
	ds_write2_b64 v68, v[20:21], v[16:17] offset1:77
	ds_write2_b64 v68, v[18:19], v[8:9] offset0:154 offset1:231
	ds_write_b64 v68, v[2:3] offset:2464
	buffer_load_dword v3, off, s[20:23], 0 offset:480 ; 4-byte Folded Reload
	v_mul_f32_e32 v50, v133, v29
	v_add_f32_e32 v27, v81, v87
	v_mul_f32_e32 v59, v113, v31
	v_add_f32_e32 v31, v82, v89
	v_sub_f32_e32 v29, v83, v84
	v_fmac_f32_e32 v50, v132, v28
	v_add_f32_e32 v28, v10, v82
	v_fma_f32 v22, -0.5, v27, v10
	v_sub_f32_e32 v27, v88, v85
	v_fma_f32 v10, -0.5, v31, v10
	v_add_f32_e32 v31, v11, v88
	v_add_f32_e32 v23, v28, v81
	v_fmac_f32_e32 v59, v112, v30
	v_fmamk_f32 v24, v27, 0xbf737871, v22
	v_fmac_f32_e32 v22, 0x3f737871, v27
	v_mul_f32_e32 v52, v117, v33
	v_sub_f32_e32 v28, v82, v81
	v_sub_f32_e32 v30, v89, v87
	v_add_f32_e32 v23, v23, v87
	v_fmac_f32_e32 v24, 0xbf167918, v29
	v_fmamk_f32 v26, v29, 0x3f737871, v10
	v_fmac_f32_e32 v22, 0x3f167918, v29
	v_fmac_f32_e32 v10, 0xbf737871, v29
	v_add_f32_e32 v29, v31, v83
	v_fmac_f32_e32 v52, v116, v32
	v_add_f32_e32 v25, v28, v30
	v_add_f32_e32 v28, v23, v89
	v_sub_f32_e32 v23, v81, v82
	v_sub_f32_e32 v30, v87, v89
	v_add_f32_e32 v32, v83, v84
	v_mul_f32_e32 v54, v119, v35
	v_fmac_f32_e32 v26, 0xbf167918, v27
	v_fmac_f32_e32 v10, 0x3f167918, v27
	v_add_f32_e32 v27, v29, v84
	v_add_f32_e32 v29, v88, v85
	;; [unrolled: 1-line block ×3, first 2 shown]
	v_fma_f32 v23, -0.5, v32, v11
	v_sub_f32_e32 v31, v82, v89
	v_fmac_f32_e32 v54, v118, v34
	v_sub_f32_e32 v32, v81, v87
	v_sub_f32_e32 v33, v88, v83
	v_sub_f32_e32 v34, v85, v84
	v_fmac_f32_e32 v11, -0.5, v29
	v_fmac_f32_e32 v24, 0x3e9e377a, v25
	v_fmac_f32_e32 v22, 0x3e9e377a, v25
	v_fmamk_f32 v25, v31, 0x3f737871, v23
	v_fmac_f32_e32 v26, 0x3e9e377a, v30
	v_fmac_f32_e32 v10, 0x3e9e377a, v30
	v_add_f32_e32 v29, v27, v85
	v_add_f32_e32 v33, v33, v34
	v_fmamk_f32 v27, v32, 0xbf737871, v11
	v_sub_f32_e32 v30, v83, v88
	v_sub_f32_e32 v34, v84, v85
	v_fmac_f32_e32 v11, 0x3f737871, v32
	v_fmac_f32_e32 v23, 0xbf737871, v31
	;; [unrolled: 1-line block ×4, first 2 shown]
	v_add_f32_e32 v34, v30, v34
	v_fmac_f32_e32 v11, 0xbf167918, v31
	v_fmac_f32_e32 v23, 0xbf167918, v32
	;; [unrolled: 1-line block ×3, first 2 shown]
	v_add_f32_e32 v36, v4, v86
	v_fmac_f32_e32 v27, 0x3e9e377a, v34
	v_fmac_f32_e32 v11, 0x3e9e377a, v34
	;; [unrolled: 1-line block ×3, first 2 shown]
	v_add_f32_e32 v35, v91, v92
	v_add_f32_e32 v33, v36, v91
	;; [unrolled: 1-line block ×3, first 2 shown]
	v_sub_f32_e32 v36, v86, v91
	v_sub_f32_e32 v75, v94, v92
	v_fma_f32 v30, -0.5, v35, v4
	v_sub_f32_e32 v35, v90, v96
	v_add_f32_e32 v31, v33, v92
	v_sub_f32_e32 v37, v93, v95
	v_fma_f32 v4, -0.5, v76, v4
	v_add_f32_e32 v33, v36, v75
	v_fmamk_f32 v32, v35, 0xbf737871, v30
	v_add_f32_e32 v34, v31, v94
	v_fmac_f32_e32 v30, 0x3f737871, v35
	v_sub_f32_e32 v31, v91, v86
	v_sub_f32_e32 v75, v92, v94
	v_add_f32_e32 v76, v5, v90
	v_add_f32_e32 v77, v93, v95
	v_fmamk_f32 v36, v37, 0x3f737871, v4
	v_fmac_f32_e32 v4, 0xbf737871, v37
	v_fmac_f32_e32 v32, 0xbf167918, v37
	;; [unrolled: 1-line block ×3, first 2 shown]
	v_add_f32_e32 v75, v31, v75
	v_add_f32_e32 v37, v76, v93
	v_fma_f32 v31, -0.5, v77, v5
	v_sub_f32_e32 v76, v86, v94
	v_fmac_f32_e32 v36, 0xbf167918, v35
	v_fmac_f32_e32 v4, 0x3f167918, v35
	v_sub_f32_e32 v78, v90, v93
	v_sub_f32_e32 v79, v96, v95
	v_fmac_f32_e32 v32, 0x3e9e377a, v33
	v_fmac_f32_e32 v30, 0x3e9e377a, v33
	v_add_f32_e32 v35, v37, v95
	v_fmamk_f32 v33, v76, 0x3f737871, v31
	v_add_f32_e32 v37, v90, v96
	v_sub_f32_e32 v77, v91, v92
	v_fmac_f32_e32 v31, 0xbf737871, v76
	v_fmac_f32_e32 v36, 0x3e9e377a, v75
	;; [unrolled: 1-line block ×3, first 2 shown]
	v_add_f32_e32 v78, v78, v79
	v_sub_f32_e32 v75, v93, v90
	v_sub_f32_e32 v79, v95, v96
	v_add_f32_e32 v80, v73, v99
	v_fma_f32 v5, -0.5, v37, v5
	v_fmac_f32_e32 v33, 0x3f167918, v77
	v_fmac_f32_e32 v31, 0xbf167918, v77
	v_add_f32_e32 v81, v6, v97
	v_add_f32_e32 v79, v75, v79
	v_fma_f32 v75, -0.5, v80, v6
	v_sub_f32_e32 v80, v74, v100
	v_add_f32_e32 v84, v97, v98
	v_fmamk_f32 v37, v77, 0xbf737871, v5
	v_fmac_f32_e32 v33, 0x3e9e377a, v78
	v_fmac_f32_e32 v31, 0x3e9e377a, v78
	;; [unrolled: 1-line block ×3, first 2 shown]
	v_add_f32_e32 v78, v81, v73
	v_fmamk_f32 v77, v80, 0xbf737871, v75
	v_sub_f32_e32 v82, v72, v101
	v_sub_f32_e32 v81, v97, v73
	;; [unrolled: 1-line block ×3, first 2 shown]
	v_fma_f32 v6, -0.5, v84, v6
	v_fmac_f32_e32 v75, 0x3f737871, v80
	v_add_f32_e32 v84, v7, v74
	v_fmac_f32_e32 v37, 0x3f167918, v76
	v_fmac_f32_e32 v5, 0xbf167918, v76
	v_add_f32_e32 v76, v78, v99
	v_fmac_f32_e32 v77, 0xbf167918, v82
	v_add_f32_e32 v78, v81, v83
	v_fmamk_f32 v81, v82, 0x3f737871, v6
	v_fmac_f32_e32 v75, 0x3f167918, v82
	v_fmac_f32_e32 v6, 0xbf737871, v82
	v_add_f32_e32 v82, v84, v72
	v_fmac_f32_e32 v37, 0x3e9e377a, v79
	v_fmac_f32_e32 v5, 0x3e9e377a, v79
	v_add_f32_e32 v79, v76, v98
	v_sub_f32_e32 v76, v73, v97
	v_sub_f32_e32 v83, v99, v98
	v_add_f32_e32 v85, v72, v101
	v_fmac_f32_e32 v81, 0xbf167918, v80
	v_fmac_f32_e32 v6, 0x3f167918, v80
	v_add_f32_e32 v80, v82, v101
	v_add_f32_e32 v82, v74, v100
	;; [unrolled: 1-line block ×3, first 2 shown]
	v_fma_f32 v76, -0.5, v85, v7
	v_sub_f32_e32 v84, v97, v98
	v_sub_f32_e32 v73, v73, v99
	v_fmac_f32_e32 v7, -0.5, v82
	v_fmac_f32_e32 v77, 0x3e9e377a, v78
	v_fmac_f32_e32 v75, 0x3e9e377a, v78
	v_fmamk_f32 v78, v84, 0x3f737871, v76
	v_sub_f32_e32 v85, v74, v72
	v_sub_f32_e32 v86, v100, v101
	v_fmamk_f32 v82, v73, 0xbf737871, v7
	v_sub_f32_e32 v72, v72, v74
	v_sub_f32_e32 v74, v101, v100
	v_fmac_f32_e32 v7, 0x3f737871, v73
	v_fmac_f32_e32 v76, 0xbf737871, v84
	;; [unrolled: 1-line block ×5, first 2 shown]
	v_add_f32_e32 v83, v85, v86
	v_fmac_f32_e32 v82, 0x3f167918, v84
	v_add_f32_e32 v74, v72, v74
	v_fmac_f32_e32 v7, 0xbf167918, v84
	;; [unrolled: 2-line block ×4, first 2 shown]
	v_fmac_f32_e32 v82, 0x3e9e377a, v74
	v_fmac_f32_e32 v7, 0x3e9e377a, v74
	;; [unrolled: 1-line block ×3, first 2 shown]
	v_add_f32_e32 v85, v65, v66
	v_add_f32_e32 v86, v12, v70
	v_sub_f32_e32 v88, v63, v69
	v_add_f32_e32 v89, v70, v71
	v_sub_f32_e32 v87, v71, v66
	v_fma_f32 v72, -0.5, v85, v12
	v_add_f32_e32 v73, v86, v65
	v_sub_f32_e32 v86, v64, v67
	v_sub_f32_e32 v85, v70, v65
	v_fma_f32 v12, -0.5, v89, v12
	v_fmamk_f32 v83, v88, 0xbf737871, v72
	v_fmac_f32_e32 v72, 0x3f737871, v88
	v_add_f32_e32 v89, v13, v63
	v_add_f32_e32 v73, v73, v66
	;; [unrolled: 1-line block ×3, first 2 shown]
	v_fmac_f32_e32 v83, 0xbf167918, v86
	v_fmamk_f32 v87, v86, 0x3f737871, v12
	v_fmac_f32_e32 v72, 0x3f167918, v86
	v_fmac_f32_e32 v12, 0xbf737871, v86
	v_add_f32_e32 v86, v89, v64
	v_add_f32_e32 v85, v73, v71
	v_sub_f32_e32 v73, v65, v70
	v_sub_f32_e32 v74, v66, v71
	v_add_f32_e32 v90, v64, v67
	v_sub_f32_e32 v70, v70, v71
	v_add_f32_e32 v71, v86, v67
	v_add_f32_e32 v86, v63, v69
	v_add_f32_e32 v74, v73, v74
	v_fma_f32 v73, -0.5, v90, v13
	v_fmac_f32_e32 v87, 0xbf167918, v88
	v_fmac_f32_e32 v12, 0x3f167918, v88
	v_sub_f32_e32 v65, v65, v66
	v_sub_f32_e32 v66, v63, v64
	;; [unrolled: 1-line block ×3, first 2 shown]
	v_fma_f32 v13, -0.5, v86, v13
	v_fmac_f32_e32 v83, 0x3e9e377a, v84
	v_fmac_f32_e32 v72, 0x3e9e377a, v84
	v_fmamk_f32 v84, v70, 0x3f737871, v73
	v_add_f32_e32 v66, v66, v88
	v_fmamk_f32 v88, v65, 0xbf737871, v13
	v_sub_f32_e32 v63, v64, v63
	v_sub_f32_e32 v64, v67, v69
	v_fmac_f32_e32 v13, 0x3f737871, v65
	v_fmac_f32_e32 v73, 0xbf737871, v70
	;; [unrolled: 1-line block ×4, first 2 shown]
	v_add_f32_e32 v64, v63, v64
	v_fmac_f32_e32 v13, 0xbf167918, v70
	v_fmac_f32_e32 v73, 0xbf167918, v65
	v_add_f32_e32 v86, v71, v69
	v_fmac_f32_e32 v84, 0x3e9e377a, v66
	v_fmac_f32_e32 v87, 0x3e9e377a, v74
	;; [unrolled: 1-line block ×6, first 2 shown]
	v_add_f32_e32 v69, v14, v60
	v_add_f32_e32 v67, v57, v59
	v_add_f32_e32 v89, v60, v62
	v_sub_f32_e32 v71, v56, v58
	v_sub_f32_e32 v74, v62, v59
	v_add_f32_e32 v66, v69, v57
	v_fma_f32 v63, -0.5, v67, v14
	v_sub_f32_e32 v69, v60, v57
	v_fma_f32 v14, -0.5, v89, v14
	v_sub_f32_e32 v67, v55, v61
	v_add_f32_e32 v66, v66, v59
	v_sub_f32_e32 v64, v57, v60
	v_add_f32_e32 v70, v69, v74
	v_fmamk_f32 v89, v71, 0x3f737871, v14
	v_add_f32_e32 v74, v15, v55
	v_add_f32_e32 v69, v66, v62
	v_sub_f32_e32 v66, v59, v62
	v_add_f32_e32 v90, v56, v58
	v_fmac_f32_e32 v14, 0xbf737871, v71
	v_fmamk_f32 v65, v67, 0xbf737871, v63
	v_fmac_f32_e32 v63, 0x3f737871, v67
	s_waitcnt vmcnt(0)
	ds_write2_b64 v3, v[28:29], v[24:25] offset1:77
	ds_write2_b64 v3, v[26:27], v[10:11] offset0:154 offset1:231
	buffer_load_dword v8, off, s[20:23], 0 offset:488 ; 4-byte Folded Reload
	ds_write_b64 v3, v[22:23] offset:2464
	buffer_load_dword v3, off, s[20:23], 0 offset:484 ; 4-byte Folded Reload
	v_fmac_f32_e32 v89, 0xbf167918, v67
	v_add_f32_e32 v91, v64, v66
	v_add_f32_e32 v66, v74, v56
	v_fma_f32 v64, -0.5, v90, v15
	v_sub_f32_e32 v60, v60, v62
	v_fmac_f32_e32 v14, 0x3f167918, v67
	v_add_f32_e32 v67, v55, v61
	v_fmac_f32_e32 v65, 0xbf167918, v71
	v_fmac_f32_e32 v63, 0x3f167918, v71
	v_add_f32_e32 v62, v66, v58
	v_fmamk_f32 v66, v60, 0x3f737871, v64
	v_sub_f32_e32 v57, v57, v59
	v_sub_f32_e32 v59, v55, v56
	;; [unrolled: 1-line block ×3, first 2 shown]
	v_fmac_f32_e32 v15, -0.5, v67
	v_fmac_f32_e32 v64, 0xbf737871, v60
	v_sub_f32_e32 v55, v56, v55
	v_sub_f32_e32 v56, v58, v61
	v_add_f32_e32 v58, v49, v52
	v_fmac_f32_e32 v66, 0x3f167918, v57
	v_add_f32_e32 v59, v59, v71
	v_fmamk_f32 v90, v57, 0xbf737871, v15
	v_fmac_f32_e32 v64, 0xbf167918, v57
	v_add_f32_e32 v56, v55, v56
	v_fmac_f32_e32 v15, 0x3f737871, v57
	v_add_f32_e32 v57, v0, v50
	v_fma_f32 v55, -0.5, v58, v0
	v_sub_f32_e32 v58, v47, v53
	v_fmac_f32_e32 v65, 0x3e9e377a, v70
	v_fmac_f32_e32 v63, 0x3e9e377a, v70
	v_add_f32_e32 v70, v62, v61
	v_fmac_f32_e32 v66, 0x3e9e377a, v59
	v_fmac_f32_e32 v90, 0x3f167918, v60
	;; [unrolled: 1-line block ×4, first 2 shown]
	v_add_f32_e32 v59, v57, v49
	v_fmamk_f32 v57, v58, 0xbf737871, v55
	v_sub_f32_e32 v60, v48, v51
	v_sub_f32_e32 v61, v50, v49
	;; [unrolled: 1-line block ×3, first 2 shown]
	v_fmac_f32_e32 v55, 0x3f737871, v58
	v_add_f32_e32 v67, v50, v54
	v_fmac_f32_e32 v57, 0xbf167918, v60
	v_add_f32_e32 v59, v59, v52
	v_add_f32_e32 v61, v61, v62
	v_fmac_f32_e32 v55, 0x3f167918, v60
	v_fma_f32 v0, -0.5, v67, v0
	v_sub_f32_e32 v62, v49, v50
	v_sub_f32_e32 v67, v52, v54
	v_fmac_f32_e32 v90, 0x3e9e377a, v56
	v_fmac_f32_e32 v15, 0x3e9e377a, v56
	;; [unrolled: 1-line block ×4, first 2 shown]
	v_fmamk_f32 v61, v60, 0x3f737871, v0
	v_add_f32_e32 v56, v48, v51
	v_fmac_f32_e32 v0, 0xbf737871, v60
	v_add_f32_e32 v60, v1, v47
	v_add_f32_e32 v59, v59, v54
	v_sub_f32_e32 v50, v50, v54
	v_add_f32_e32 v54, v62, v67
	v_add_f32_e32 v62, v47, v53
	v_fma_f32 v56, -0.5, v56, v1
	v_fmac_f32_e32 v61, 0xbf167918, v58
	v_fmac_f32_e32 v0, 0x3f167918, v58
	v_add_f32_e32 v60, v60, v48
	v_sub_f32_e32 v49, v49, v52
	v_fmac_f32_e32 v1, -0.5, v62
	v_fmamk_f32 v58, v50, 0x3f737871, v56
	v_fmac_f32_e32 v61, 0x3e9e377a, v54
	v_fmac_f32_e32 v0, 0x3e9e377a, v54
	v_add_f32_e32 v52, v60, v51
	v_sub_f32_e32 v54, v47, v48
	v_sub_f32_e32 v60, v53, v51
	v_fmac_f32_e32 v56, 0xbf737871, v50
	v_fmamk_f32 v62, v49, 0xbf737871, v1
	v_sub_f32_e32 v47, v48, v47
	v_sub_f32_e32 v48, v51, v53
	v_fmac_f32_e32 v1, 0x3f737871, v49
	v_fmac_f32_e32 v58, 0x3f167918, v49
	v_add_f32_e32 v51, v54, v60
	v_fmac_f32_e32 v56, 0xbf167918, v49
	v_fmac_f32_e32 v62, 0x3f167918, v50
	v_add_f32_e32 v47, v47, v48
	v_fmac_f32_e32 v1, 0xbf167918, v50
	v_fmac_f32_e32 v89, 0x3e9e377a, v91
	;; [unrolled: 1-line block ×3, first 2 shown]
	v_add_f32_e32 v60, v52, v53
	v_fmac_f32_e32 v58, 0x3e9e377a, v51
	v_fmac_f32_e32 v56, 0x3e9e377a, v51
	;; [unrolled: 1-line block ×4, first 2 shown]
	s_waitcnt vmcnt(1)
	v_add_nc_u32_e32 v2, 0x1800, v8
	s_waitcnt vmcnt(0)
	ds_write2_b64 v3, v[34:35], v[32:33] offset1:77
	ds_write2_b64 v3, v[36:37], v[4:5] offset0:154 offset1:231
	ds_write_b64 v3, v[30:31] offset:2464
	ds_write2_b64 v2, v[79:80], v[77:78] offset0:2 offset1:79
	ds_write2_b64 v2, v[81:82], v[6:7] offset0:156 offset1:233
	ds_write_b64 v8, v[75:76] offset:8624
	buffer_load_dword v3, off, s[20:23], 0 offset:492 ; 4-byte Folded Reload
	s_waitcnt vmcnt(0)
	ds_write2_b64 v3, v[85:86], v[83:84] offset1:77
	ds_write2_b64 v3, v[87:88], v[12:13] offset0:154 offset1:231
	buffer_load_dword v4, off, s[20:23], 0 offset:500 ; 4-byte Folded Reload
	ds_write_b64 v3, v[72:73] offset:2464
	buffer_load_dword v3, off, s[20:23], 0 offset:496 ; 4-byte Folded Reload
	s_waitcnt vmcnt(1)
	v_add_nc_u32_e32 v2, 0x3000, v4
	s_waitcnt vmcnt(0)
	ds_write2_b64 v3, v[69:70], v[65:66] offset1:77
	ds_write2_b64 v3, v[89:90], v[14:15] offset0:154 offset1:231
	ds_write_b64 v3, v[63:64] offset:2464
	ds_write2_b64 v2, v[59:60], v[57:58] offset0:4 offset1:81
	ds_write2_b64 v2, v[61:62], v[0:1] offset0:158 offset1:235
	ds_write_b64 v4, v[55:56] offset:14784
	s_waitcnt lgkmcnt(0)
	s_barrier
	buffer_gl0_inv
	ds_read2_b64 v[0:3], v39 offset0:74 offset1:129
	ds_read2_b64 v[8:11], v68 offset1:55
	ds_read2_b64 v[16:19], v45 offset0:2 offset1:57
	ds_read2_b64 v[20:23], v41 offset0:76 offset1:131
	;; [unrolled: 1-line block ×15, first 2 shown]
	ds_read_b64 v[36:37], v68 offset:14960
	s_waitcnt lgkmcnt(17)
	v_mul_f32_e32 v90, v153, v3
	v_mul_f32_e32 v63, v153, v2
	s_waitcnt lgkmcnt(15)
	v_mul_f32_e32 v92, v155, v17
	s_waitcnt lgkmcnt(14)
	;; [unrolled: 2-line block ×3, first 2 shown]
	v_mul_f32_e32 v94, v175, v25
	v_fmac_f32_e32 v90, v152, v2
	v_fma_f32 v91, v152, v3, -v63
	v_mul_f32_e32 v2, v155, v16
	v_mul_f32_e32 v3, v173, v22
	v_fmac_f32_e32 v93, v172, v22
	s_waitcnt lgkmcnt(12)
	v_mul_f32_e32 v96, v157, v29
	v_fmac_f32_e32 v92, v154, v16
	v_fma_f32 v95, v154, v17, -v2
	v_fma_f32 v22, v172, v23, -v3
	v_mul_f32_e32 v2, v175, v24
	v_mul_f32_e32 v3, v157, v28
	;; [unrolled: 1-line block ×3, first 2 shown]
	s_waitcnt lgkmcnt(7)
	v_mul_f32_e32 v106, v185, v56
	v_mul_f32_e32 v101, v163, v48
	v_fma_f32 v23, v174, v25, -v2
	v_fma_f32 v98, v156, v29, -v3
	v_mul_f32_e32 v29, v169, v33
	v_mul_f32_e32 v2, v169, v32
	;; [unrolled: 1-line block ×3, first 2 shown]
	v_fma_f32 v99, v158, v19, -v16
	v_mul_f32_e32 v16, v165, v34
	v_fmac_f32_e32 v29, v168, v32
	v_fma_f32 v32, v168, v33, -v2
	v_fma_f32 v33, v170, v27, -v3
	v_mul_f32_e32 v2, v161, v30
	v_mul_f32_e32 v3, v163, v47
	v_fma_f32 v105, v164, v35, -v16
	v_mul_f32_e32 v16, v179, v53
	v_mul_f32_e32 v73, v187, v50
	v_fma_f32 v103, v160, v31, -v2
	v_fma_f32 v104, v162, v48, -v3
	v_mul_f32_e32 v2, v167, v51
	v_mul_f32_e32 v3, v185, v55
	v_fma_f32 v112, v178, v54, -v16
	s_waitcnt lgkmcnt(2)
	v_mul_f32_e32 v16, v201, v82
	v_fmac_f32_e32 v106, v184, v55
	v_fma_f32 v107, v166, v52, -v2
	v_fma_f32 v72, v184, v56, -v3
	v_mul_f32_e32 v2, v187, v49
	v_mul_f32_e32 v3, v177, v59
	;; [unrolled: 1-line block ×4, first 2 shown]
	v_fma_f32 v55, v200, v83, -v16
	v_fma_f32 v110, v186, v50, -v2
	;; [unrolled: 1-line block ×3, first 2 shown]
	v_mul_f32_e32 v2, v197, v57
	v_mul_f32_e32 v3, v199, v74
	;; [unrolled: 1-line block ×3, first 2 shown]
	v_fmac_f32_e32 v94, v174, v24
	v_mul_f32_e32 v97, v159, v19
	v_fma_f32 v63, v196, v58, -v2
	v_fma_f32 v64, v198, v75, -v3
	v_mul_f32_e32 v2, v189, v61
	v_mul_f32_e32 v3, v191, v78
	;; [unrolled: 1-line block ×3, first 2 shown]
	v_fmac_f32_e32 v101, v162, v47
	v_mul_f32_e32 v35, v167, v52
	v_fma_f32 v67, v188, v62, -v2
	v_fma_f32 v69, v190, v79, -v3
	v_mul_f32_e32 v2, v203, v76
	s_waitcnt lgkmcnt(1)
	v_mul_f32_e32 v3, v193, v86
	v_fmac_f32_e32 v73, v186, v49
	v_fmac_f32_e32 v66, v188, v61
	v_mul_f32_e32 v49, v207, v21
	v_fma_f32 v56, v202, v77, -v2
	v_fma_f32 v58, v192, v87, -v3
	v_mul_f32_e32 v2, v195, v80
	v_mul_f32_e32 v3, v205, v84
	v_fma_f32 v48, v206, v21, -v16
	v_add_f32_e32 v16, v8, v90
	v_fmac_f32_e32 v97, v158, v18
	v_fma_f32 v61, v194, v81, -v2
	v_fma_f32 v47, v204, v85, -v3
	v_add_f32_e32 v2, v92, v93
	v_mul_f32_e32 v3, v181, v88
	v_mul_f32_e32 v25, v171, v27
	v_fmac_f32_e32 v35, v166, v51
	v_mul_f32_e32 v109, v179, v54
	v_fmac_f32_e32 v49, v206, v20
	v_fma_f32 v2, -0.5, v2, v8
	v_sub_f32_e32 v17, v91, v23
	v_fma_f32 v51, v180, v89, -v3
	v_add_f32_e32 v3, v16, v92
	v_sub_f32_e32 v18, v90, v92
	v_sub_f32_e32 v20, v94, v93
	v_add_f32_e32 v21, v90, v94
	s_waitcnt lgkmcnt(0)
	v_mul_f32_e32 v24, v183, v36
	v_fmac_f32_e32 v25, v170, v26
	v_fmac_f32_e32 v109, v178, v53
	v_fmamk_f32 v16, v17, 0xbf737871, v2
	v_sub_f32_e32 v19, v95, v22
	v_add_f32_e32 v3, v3, v93
	v_add_f32_e32 v26, v18, v20
	v_fma_f32 v18, -0.5, v21, v8
	v_fma_f32 v53, v182, v37, -v24
	v_fmac_f32_e32 v2, 0x3f737871, v17
	v_add_f32_e32 v24, v9, v91
	v_mul_f32_e32 v100, v161, v31
	v_fmac_f32_e32 v16, 0xbf167918, v19
	v_add_f32_e32 v8, v3, v94
	v_fmamk_f32 v20, v19, 0x3f737871, v18
	v_sub_f32_e32 v3, v92, v90
	v_sub_f32_e32 v21, v93, v94
	v_fmac_f32_e32 v2, 0x3f167918, v19
	v_add_f32_e32 v27, v95, v22
	v_fmac_f32_e32 v18, 0xbf737871, v19
	v_add_f32_e32 v19, v24, v95
	v_fmac_f32_e32 v96, v156, v28
	v_fmac_f32_e32 v100, v160, v30
	v_add_f32_e32 v21, v3, v21
	v_fma_f32 v3, -0.5, v27, v9
	v_sub_f32_e32 v27, v90, v94
	v_add_f32_e32 v24, v19, v22
	v_add_f32_e32 v19, v91, v23
	v_sub_f32_e32 v28, v91, v95
	v_sub_f32_e32 v30, v23, v22
	v_mul_f32_e32 v54, v183, v37
	v_fmac_f32_e32 v16, 0x3e9e377a, v26
	v_fmac_f32_e32 v20, 0xbf167918, v17
	;; [unrolled: 1-line block ×4, first 2 shown]
	v_fmamk_f32 v17, v27, 0x3f737871, v3
	v_sub_f32_e32 v26, v92, v93
	v_fma_f32 v19, -0.5, v19, v9
	v_add_f32_e32 v9, v24, v23
	v_add_f32_e32 v24, v28, v30
	v_fmac_f32_e32 v3, 0xbf737871, v27
	v_sub_f32_e32 v28, v95, v91
	v_sub_f32_e32 v22, v22, v23
	v_add_f32_e32 v23, v97, v29
	v_add_f32_e32 v30, v10, v96
	v_fmac_f32_e32 v54, v182, v36
	v_fmac_f32_e32 v20, 0x3e9e377a, v21
	;; [unrolled: 1-line block ×4, first 2 shown]
	v_fmamk_f32 v21, v26, 0xbf737871, v19
	v_fmac_f32_e32 v3, 0xbf167918, v26
	v_add_f32_e32 v28, v28, v22
	v_fma_f32 v22, -0.5, v23, v10
	v_sub_f32_e32 v31, v98, v33
	v_fmac_f32_e32 v19, 0x3f737871, v26
	v_add_f32_e32 v23, v30, v97
	v_add_f32_e32 v36, v96, v25
	v_fmac_f32_e32 v102, v164, v34
	v_fmac_f32_e32 v17, 0x3e9e377a, v24
	;; [unrolled: 1-line block ×4, first 2 shown]
	v_fmamk_f32 v24, v31, 0xbf737871, v22
	v_sub_f32_e32 v30, v99, v32
	v_sub_f32_e32 v26, v96, v97
	;; [unrolled: 1-line block ×3, first 2 shown]
	v_fmac_f32_e32 v19, 0xbf167918, v27
	v_add_f32_e32 v23, v23, v29
	v_fma_f32 v10, -0.5, v36, v10
	v_fmac_f32_e32 v22, 0x3f737871, v31
	v_add_f32_e32 v36, v11, v98
	v_fmac_f32_e32 v21, 0x3e9e377a, v28
	v_fmac_f32_e32 v24, 0xbf167918, v30
	v_add_f32_e32 v27, v26, v34
	v_fmac_f32_e32 v19, 0x3e9e377a, v28
	v_add_f32_e32 v28, v23, v25
	v_fmamk_f32 v26, v30, 0x3f737871, v10
	v_sub_f32_e32 v23, v97, v96
	v_sub_f32_e32 v34, v29, v25
	v_fmac_f32_e32 v22, 0x3f167918, v30
	v_add_f32_e32 v37, v99, v32
	v_fmac_f32_e32 v10, 0xbf737871, v30
	v_add_f32_e32 v30, v36, v99
	v_mul_f32_e32 v65, v199, v75
	v_fmac_f32_e32 v24, 0x3e9e377a, v27
	v_add_f32_e32 v34, v23, v34
	v_fma_f32 v23, -0.5, v37, v11
	v_sub_f32_e32 v36, v96, v25
	v_fmac_f32_e32 v22, 0x3e9e377a, v27
	v_add_f32_e32 v27, v30, v32
	v_add_f32_e32 v30, v98, v33
	v_fmac_f32_e32 v65, v198, v74
	v_fmac_f32_e32 v26, 0xbf167918, v31
	;; [unrolled: 1-line block ×3, first 2 shown]
	v_fmamk_f32 v25, v36, 0x3f737871, v23
	v_sub_f32_e32 v31, v97, v29
	v_sub_f32_e32 v37, v98, v99
	;; [unrolled: 1-line block ×3, first 2 shown]
	v_fmac_f32_e32 v11, -0.5, v30
	v_fmac_f32_e32 v23, 0xbf737871, v36
	v_sub_f32_e32 v30, v99, v98
	v_sub_f32_e32 v32, v32, v33
	v_fmac_f32_e32 v70, v196, v57
	v_mul_f32_e32 v57, v203, v77
	v_fmac_f32_e32 v26, 0x3e9e377a, v34
	v_fmac_f32_e32 v10, 0x3e9e377a, v34
	v_add_f32_e32 v29, v27, v33
	v_fmac_f32_e32 v25, 0x3f167918, v31
	v_add_f32_e32 v34, v37, v74
	v_add_f32_e32 v33, v101, v102
	v_fmac_f32_e32 v23, 0xbf167918, v31
	v_add_f32_e32 v37, v30, v32
	v_add_f32_e32 v32, v12, v100
	v_fmac_f32_e32 v57, v202, v76
	v_fmamk_f32 v27, v31, 0xbf737871, v11
	v_fmac_f32_e32 v25, 0x3e9e377a, v34
	v_fma_f32 v30, -0.5, v33, v12
	v_sub_f32_e32 v33, v103, v107
	v_fmac_f32_e32 v23, 0x3e9e377a, v34
	v_fmac_f32_e32 v11, 0x3f737871, v31
	v_add_f32_e32 v31, v32, v101
	v_sub_f32_e32 v34, v100, v101
	v_sub_f32_e32 v75, v35, v102
	v_add_f32_e32 v76, v100, v35
	v_fmac_f32_e32 v27, 0x3f167918, v36
	v_fmamk_f32 v32, v33, 0xbf737871, v30
	v_sub_f32_e32 v74, v104, v105
	v_fmac_f32_e32 v11, 0xbf167918, v36
	v_add_f32_e32 v31, v31, v102
	v_add_f32_e32 v75, v34, v75
	v_fma_f32 v34, -0.5, v76, v12
	v_fmac_f32_e32 v30, 0x3f737871, v33
	v_add_f32_e32 v76, v13, v103
	v_mul_f32_e32 v108, v177, v60
	v_mul_f32_e32 v71, v191, v79
	v_fmac_f32_e32 v27, 0x3e9e377a, v37
	v_fmac_f32_e32 v32, 0xbf167918, v74
	;; [unrolled: 1-line block ×3, first 2 shown]
	v_add_f32_e32 v12, v31, v35
	v_fmamk_f32 v36, v74, 0x3f737871, v34
	v_sub_f32_e32 v31, v101, v100
	v_sub_f32_e32 v37, v102, v35
	v_fmac_f32_e32 v30, 0x3f167918, v74
	v_add_f32_e32 v77, v104, v105
	v_fmac_f32_e32 v34, 0xbf737871, v74
	v_add_f32_e32 v74, v76, v104
	v_fmac_f32_e32 v108, v176, v59
	v_fmac_f32_e32 v71, v190, v78
	v_mul_f32_e32 v62, v195, v81
	v_add_f32_e32 v37, v31, v37
	v_fma_f32 v31, -0.5, v77, v13
	v_sub_f32_e32 v77, v100, v35
	v_add_f32_e32 v74, v74, v105
	v_add_f32_e32 v35, v103, v107
	v_sub_f32_e32 v76, v103, v104
	v_sub_f32_e32 v78, v107, v105
	v_fmac_f32_e32 v62, v194, v80
	v_fmac_f32_e32 v32, 0x3e9e377a, v75
	;; [unrolled: 1-line block ×5, first 2 shown]
	v_fmamk_f32 v33, v77, 0x3f737871, v31
	v_sub_f32_e32 v75, v101, v102
	v_fma_f32 v35, -0.5, v35, v13
	v_add_f32_e32 v13, v74, v107
	v_add_f32_e32 v76, v76, v78
	v_fmac_f32_e32 v31, 0xbf737871, v77
	v_sub_f32_e32 v74, v104, v103
	v_sub_f32_e32 v78, v105, v107
	v_add_f32_e32 v79, v73, v108
	v_add_f32_e32 v80, v14, v106
	v_mul_f32_e32 v60, v201, v83
	v_fmac_f32_e32 v36, 0x3e9e377a, v37
	v_fmac_f32_e32 v34, 0x3e9e377a, v37
	;; [unrolled: 1-line block ×3, first 2 shown]
	v_fmamk_f32 v37, v75, 0xbf737871, v35
	v_fmac_f32_e32 v31, 0xbf167918, v75
	v_add_f32_e32 v78, v74, v78
	v_fma_f32 v74, -0.5, v79, v14
	v_sub_f32_e32 v79, v72, v112
	v_fmac_f32_e32 v35, 0x3f737871, v75
	v_add_f32_e32 v75, v80, v73
	v_add_f32_e32 v83, v106, v109
	v_fmac_f32_e32 v60, v200, v82
	v_mul_f32_e32 v50, v205, v85
	v_fmac_f32_e32 v33, 0x3e9e377a, v76
	v_fmac_f32_e32 v37, 0x3f167918, v77
	;; [unrolled: 1-line block ×3, first 2 shown]
	v_fmamk_f32 v76, v79, 0xbf737871, v74
	v_sub_f32_e32 v81, v110, v111
	v_sub_f32_e32 v80, v106, v73
	;; [unrolled: 1-line block ×3, first 2 shown]
	v_fmac_f32_e32 v35, 0xbf167918, v77
	v_add_f32_e32 v75, v75, v108
	v_fma_f32 v14, -0.5, v83, v14
	v_fmac_f32_e32 v74, 0x3f737871, v79
	v_add_f32_e32 v83, v15, v72
	v_fmac_f32_e32 v50, v204, v84
	v_fmac_f32_e32 v37, 0x3e9e377a, v78
	;; [unrolled: 1-line block ×3, first 2 shown]
	v_add_f32_e32 v77, v80, v82
	v_fmac_f32_e32 v35, 0x3e9e377a, v78
	v_add_f32_e32 v78, v75, v109
	v_fmamk_f32 v80, v81, 0x3f737871, v14
	v_sub_f32_e32 v75, v73, v106
	v_sub_f32_e32 v82, v108, v109
	v_fmac_f32_e32 v74, 0x3f167918, v81
	v_add_f32_e32 v84, v110, v111
	v_fmac_f32_e32 v14, 0xbf737871, v81
	v_add_f32_e32 v81, v83, v110
	v_mul_f32_e32 v59, v193, v87
	v_fmac_f32_e32 v80, 0xbf167918, v79
	v_add_f32_e32 v82, v75, v82
	v_fma_f32 v75, -0.5, v84, v15
	v_sub_f32_e32 v83, v106, v109
	v_fmac_f32_e32 v14, 0x3f167918, v79
	v_add_f32_e32 v79, v81, v111
	v_add_f32_e32 v81, v72, v112
	v_fmac_f32_e32 v59, v192, v86
	v_fmac_f32_e32 v76, 0x3e9e377a, v77
	;; [unrolled: 1-line block ×3, first 2 shown]
	v_fmamk_f32 v77, v83, 0x3f737871, v75
	v_sub_f32_e32 v73, v73, v108
	v_sub_f32_e32 v84, v72, v110
	;; [unrolled: 1-line block ×3, first 2 shown]
	v_fmac_f32_e32 v15, -0.5, v81
	v_fmac_f32_e32 v75, 0xbf737871, v83
	v_add_f32_e32 v86, v4, v70
	v_mul_f32_e32 v52, v181, v89
	v_fmac_f32_e32 v80, 0x3e9e377a, v82
	v_fmac_f32_e32 v14, 0x3e9e377a, v82
	;; [unrolled: 1-line block ×3, first 2 shown]
	v_add_f32_e32 v82, v84, v85
	v_fmamk_f32 v81, v73, 0xbf737871, v15
	v_sub_f32_e32 v72, v110, v72
	v_sub_f32_e32 v84, v111, v112
	v_add_f32_e32 v85, v65, v66
	v_fmac_f32_e32 v75, 0xbf167918, v73
	v_fmac_f32_e32 v15, 0x3f737871, v73
	v_add_f32_e32 v73, v86, v65
	v_fmac_f32_e32 v52, v180, v88
	v_fmac_f32_e32 v81, 0x3f167918, v83
	v_add_f32_e32 v84, v72, v84
	v_fma_f32 v72, -0.5, v85, v4
	v_sub_f32_e32 v85, v63, v69
	v_sub_f32_e32 v86, v70, v65
	;; [unrolled: 1-line block ×3, first 2 shown]
	v_add_f32_e32 v89, v70, v71
	v_fmac_f32_e32 v15, 0xbf167918, v83
	v_add_f32_e32 v73, v73, v66
	v_fmac_f32_e32 v77, 0x3e9e377a, v82
	v_fmac_f32_e32 v75, 0x3e9e377a, v82
	v_fmac_f32_e32 v81, 0x3e9e377a, v84
	v_fmamk_f32 v82, v85, 0xbf737871, v72
	v_sub_f32_e32 v87, v64, v67
	v_add_f32_e32 v83, v86, v88
	v_fma_f32 v4, -0.5, v89, v4
	v_fmac_f32_e32 v15, 0x3e9e377a, v84
	v_add_f32_e32 v84, v73, v71
	v_fmac_f32_e32 v72, 0x3f737871, v85
	v_sub_f32_e32 v73, v65, v70
	v_sub_f32_e32 v88, v66, v71
	v_add_f32_e32 v89, v5, v63
	v_add_f32_e32 v90, v64, v67
	v_fmac_f32_e32 v82, 0xbf167918, v87
	v_fmamk_f32 v86, v87, 0x3f737871, v4
	v_fmac_f32_e32 v72, 0x3f167918, v87
	v_add_f32_e32 v88, v73, v88
	v_fmac_f32_e32 v4, 0xbf737871, v87
	v_add_f32_e32 v87, v89, v64
	v_fma_f32 v73, -0.5, v90, v5
	v_sub_f32_e32 v70, v70, v71
	v_fmac_f32_e32 v82, 0x3e9e377a, v83
	v_fmac_f32_e32 v86, 0xbf167918, v85
	;; [unrolled: 1-line block ×4, first 2 shown]
	v_add_f32_e32 v71, v87, v67
	v_fmamk_f32 v83, v70, 0x3f737871, v73
	v_add_f32_e32 v85, v63, v69
	v_sub_f32_e32 v65, v65, v66
	v_sub_f32_e32 v66, v63, v64
	;; [unrolled: 1-line block ×3, first 2 shown]
	v_fmac_f32_e32 v73, 0xbf737871, v70
	v_fma_f32 v5, -0.5, v85, v5
	v_add_f32_e32 v85, v71, v69
	v_fmac_f32_e32 v83, 0x3f167918, v65
	v_add_f32_e32 v66, v66, v87
	v_sub_f32_e32 v63, v64, v63
	v_sub_f32_e32 v64, v67, v69
	v_fmac_f32_e32 v73, 0xbf167918, v65
	v_add_f32_e32 v69, v6, v60
	v_fmamk_f32 v87, v65, 0xbf737871, v5
	v_fmac_f32_e32 v83, 0x3e9e377a, v66
	v_add_f32_e32 v67, v57, v59
	v_fmac_f32_e32 v73, 0x3e9e377a, v66
	v_fmac_f32_e32 v5, 0x3f737871, v65
	v_add_f32_e32 v66, v69, v57
	v_add_f32_e32 v89, v60, v62
	v_fmac_f32_e32 v86, 0x3e9e377a, v88
	v_fmac_f32_e32 v4, 0x3e9e377a, v88
	;; [unrolled: 1-line block ×3, first 2 shown]
	v_add_f32_e32 v64, v63, v64
	v_fma_f32 v63, -0.5, v67, v6
	v_sub_f32_e32 v71, v56, v58
	v_sub_f32_e32 v69, v60, v57
	;; [unrolled: 1-line block ×3, first 2 shown]
	v_fmac_f32_e32 v5, 0xbf167918, v70
	v_add_f32_e32 v66, v66, v59
	v_fma_f32 v6, -0.5, v89, v6
	v_sub_f32_e32 v67, v55, v61
	v_fmac_f32_e32 v87, 0x3e9e377a, v64
	v_add_f32_e32 v70, v69, v88
	v_fmac_f32_e32 v5, 0x3e9e377a, v64
	v_add_f32_e32 v69, v66, v62
	v_fmamk_f32 v88, v71, 0x3f737871, v6
	v_sub_f32_e32 v64, v57, v60
	v_sub_f32_e32 v66, v59, v62
	v_add_f32_e32 v89, v7, v55
	v_add_f32_e32 v90, v56, v58
	v_fmac_f32_e32 v6, 0xbf737871, v71
	v_fmamk_f32 v65, v67, 0xbf737871, v63
	v_fmac_f32_e32 v63, 0x3f737871, v67
	v_fmac_f32_e32 v88, 0xbf167918, v67
	v_add_f32_e32 v91, v64, v66
	v_add_f32_e32 v66, v89, v56
	v_fma_f32 v64, -0.5, v90, v7
	v_sub_f32_e32 v60, v60, v62
	v_fmac_f32_e32 v6, 0x3f167918, v67
	v_add_f32_e32 v67, v55, v61
	v_fmac_f32_e32 v65, 0xbf167918, v71
	v_fmac_f32_e32 v63, 0x3f167918, v71
	v_add_f32_e32 v62, v66, v58
	v_fmamk_f32 v66, v60, 0x3f737871, v64
	v_sub_f32_e32 v57, v57, v59
	v_sub_f32_e32 v59, v55, v56
	;; [unrolled: 1-line block ×3, first 2 shown]
	v_fmac_f32_e32 v7, -0.5, v67
	v_fmac_f32_e32 v64, 0xbf737871, v60
	v_sub_f32_e32 v55, v56, v55
	v_sub_f32_e32 v56, v58, v61
	v_add_f32_e32 v58, v49, v52
	v_fmac_f32_e32 v66, 0x3f167918, v57
	v_add_f32_e32 v59, v59, v71
	v_fmamk_f32 v89, v57, 0xbf737871, v7
	v_fmac_f32_e32 v64, 0xbf167918, v57
	v_add_f32_e32 v56, v55, v56
	v_fmac_f32_e32 v7, 0x3f737871, v57
	v_add_f32_e32 v57, v0, v50
	v_fma_f32 v55, -0.5, v58, v0
	v_sub_f32_e32 v58, v47, v53
	v_fmac_f32_e32 v65, 0x3e9e377a, v70
	v_fmac_f32_e32 v63, 0x3e9e377a, v70
	v_add_f32_e32 v70, v62, v61
	v_fmac_f32_e32 v66, 0x3e9e377a, v59
	v_fmac_f32_e32 v89, 0x3f167918, v60
	;; [unrolled: 1-line block ×4, first 2 shown]
	v_add_f32_e32 v59, v57, v49
	v_fmamk_f32 v57, v58, 0xbf737871, v55
	v_sub_f32_e32 v60, v48, v51
	v_sub_f32_e32 v61, v50, v49
	v_sub_f32_e32 v62, v54, v52
	v_fmac_f32_e32 v55, 0x3f737871, v58
	v_add_f32_e32 v67, v50, v54
	v_add_f32_e32 v59, v59, v52
	v_fmac_f32_e32 v57, 0xbf167918, v60
	v_add_f32_e32 v61, v61, v62
	v_fmac_f32_e32 v55, 0x3f167918, v60
	v_fma_f32 v0, -0.5, v67, v0
	v_sub_f32_e32 v62, v49, v50
	v_sub_f32_e32 v67, v52, v54
	v_fmac_f32_e32 v89, 0x3e9e377a, v56
	v_fmac_f32_e32 v7, 0x3e9e377a, v56
	v_add_f32_e32 v59, v59, v54
	v_fmac_f32_e32 v57, 0x3e9e377a, v61
	v_fmac_f32_e32 v55, 0x3e9e377a, v61
	v_fmamk_f32 v61, v60, 0x3f737871, v0
	v_add_f32_e32 v56, v48, v51
	v_fmac_f32_e32 v0, 0xbf737871, v60
	v_add_f32_e32 v60, v1, v47
	v_sub_f32_e32 v50, v50, v54
	v_add_f32_e32 v54, v62, v67
	v_add_f32_e32 v62, v47, v53
	v_fma_f32 v56, -0.5, v56, v1
	v_fmac_f32_e32 v61, 0xbf167918, v58
	v_fmac_f32_e32 v0, 0x3f167918, v58
	v_add_f32_e32 v60, v60, v48
	v_sub_f32_e32 v49, v49, v52
	v_fmac_f32_e32 v1, -0.5, v62
	v_fmamk_f32 v58, v50, 0x3f737871, v56
	v_fmac_f32_e32 v61, 0x3e9e377a, v54
	v_fmac_f32_e32 v0, 0x3e9e377a, v54
	v_add_f32_e32 v52, v60, v51
	v_sub_f32_e32 v54, v47, v48
	v_sub_f32_e32 v60, v53, v51
	v_fmac_f32_e32 v56, 0xbf737871, v50
	v_fmamk_f32 v62, v49, 0xbf737871, v1
	v_sub_f32_e32 v47, v48, v47
	v_sub_f32_e32 v48, v51, v53
	v_fmac_f32_e32 v1, 0x3f737871, v49
	v_fmac_f32_e32 v58, 0x3f167918, v49
	v_add_f32_e32 v51, v54, v60
	v_fmac_f32_e32 v56, 0xbf167918, v49
	v_fmac_f32_e32 v62, 0x3f167918, v50
	v_add_f32_e32 v47, v47, v48
	v_fmac_f32_e32 v1, 0xbf167918, v50
	v_add_f32_e32 v79, v79, v112
	v_fmac_f32_e32 v88, 0x3e9e377a, v91
	v_fmac_f32_e32 v6, 0x3e9e377a, v91
	v_add_f32_e32 v60, v52, v53
	v_fmac_f32_e32 v58, 0x3e9e377a, v51
	v_fmac_f32_e32 v56, 0x3e9e377a, v51
	;; [unrolled: 1-line block ×4, first 2 shown]
	ds_write_b64 v68, v[16:17] offset:3080
	ds_write_b64 v68, v[20:21] offset:6160
	;; [unrolled: 1-line block ×4, first 2 shown]
	ds_write2_b64 v68, v[8:9], v[28:29] offset1:55
	ds_write2_b64 v39, v[24:25], v[32:33] offset0:184 offset1:239
	ds_write2_b64 v45, v[26:27], v[36:37] offset0:57 offset1:112
	;; [unrolled: 1-line block ×5, first 2 shown]
	ds_write_b64 v68, v[80:81] offset:7480
	ds_write_b64 v68, v[14:15] offset:10560
	;; [unrolled: 1-line block ×3, first 2 shown]
	ds_write2_b64 v43, v[76:77], v[82:83] offset0:38 offset1:93
	ds_write_b64 v68, v[4:5] offset:11000
	ds_write_b64 v68, v[72:73] offset:14080
	ds_write2_b64 v46, v[84:85], v[69:70] offset0:92 offset1:147
	ds_write2_b64 v40, v[86:87], v[88:89] offset0:94 offset1:149
	ds_write_b64 v68, v[6:7] offset:11440
	ds_write_b64 v68, v[63:64] offset:14520
	;; [unrolled: 1-line block ×3, first 2 shown]
	ds_write2_b64 v43, v[65:66], v[57:58] offset0:148 offset1:203
	ds_write_b64 v68, v[61:62] offset:8800
	ds_write_b64 v68, v[0:1] offset:11880
	;; [unrolled: 1-line block ×3, first 2 shown]
	s_waitcnt lgkmcnt(0)
	s_barrier
	buffer_gl0_inv
	ds_read2_b64 v[9:12], v68 offset1:55
	s_clause 0x1
	buffer_load_dword v13, off, s[20:23], 0 offset:292
	buffer_load_dword v14, off, s[20:23], 0 offset:296
	s_waitcnt vmcnt(0) lgkmcnt(0)
	v_mul_f32_e32 v0, v14, v10
	v_mul_f32_e32 v2, v14, v9
	v_fmac_f32_e32 v0, v13, v9
	ds_read2_b64 v[6:9], v46 offset0:92 offset1:147
	s_clause 0x1
	buffer_load_dword v3, off, s[20:23], 0 offset:284
	buffer_load_dword v4, off, s[20:23], 0 offset:288
	v_cvt_f64_f32_e32 v[0:1], v0
	s_waitcnt vmcnt(0)
	v_mul_f64 v[4:5], v[0:1], s[0:1]
	v_fma_f32 v0, v13, v10, -v2
	v_cvt_f64_f32_e32 v[23:24], v0
	v_cvt_f32_f64_e32 v29, v[4:5]
	v_mul_f64 v[23:24], v[23:24], s[0:1]
	v_mov_b32_e32 v17, v3
	ds_read2_b64 v[13:16], v43 offset0:38 offset1:93
	ds_read2_b64 v[0:3], v45 offset0:2 offset1:57
	s_clause 0x2
	buffer_load_dword v27, off, s[20:23], 0 offset:356
	buffer_load_dword v28, off, s[20:23], 0 offset:360
	buffer_load_dword v46, off, s[20:23], 0
	v_mad_u64_u32 v[21:22], null, s6, v17, 0
	s_mul_hi_u32 s6, s4, 0xffffce28
	s_sub_i32 s6, s6, s4
	v_mov_b32_e32 v10, v22
	v_mad_u64_u32 v[25:26], null, s7, v17, v[10:11]
	ds_read2_b64 v[17:20], v41 offset0:76 offset1:131
	s_clause 0x1
	buffer_load_dword v31, off, s[20:23], 0 offset:340
	buffer_load_dword v32, off, s[20:23], 0 offset:344
	v_mov_b32_e32 v22, v25
	s_waitcnt vmcnt(3) lgkmcnt(3)
	v_mul_f32_e32 v26, v28, v8
	v_mul_f32_e32 v10, v28, v9
	v_fma_f32 v4, v27, v9, -v26
	v_fmac_f32_e32 v10, v27, v8
	s_waitcnt vmcnt(2)
	v_mad_u64_u32 v[8:9], null, s4, v46, 0
	s_mulk_i32 s4, 0xce28
	v_cvt_f64_f32_e32 v[27:28], v4
	v_cvt_f64_f32_e32 v[25:26], v10
	s_waitcnt vmcnt(0) lgkmcnt(2)
	v_mul_f32_e32 v4, v32, v14
	v_mul_f32_e32 v5, v32, v13
	s_clause 0x3
	buffer_load_dword v32, off, s[20:23], 0 offset:348
	buffer_load_dword v33, off, s[20:23], 0 offset:352
	;; [unrolled: 1-line block ×4, first 2 shown]
	v_fmac_f32_e32 v4, v31, v13
	v_fma_f32 v5, v31, v14, -v5
	v_cvt_f64_f32_e32 v[13:14], v4
	v_mul_f64 v[27:28], v[27:28], s[0:1]
	v_mul_f64 v[13:14], v[13:14], s[0:1]
	v_cvt_f32_f64_e32 v13, v[13:14]
	s_waitcnt vmcnt(2) lgkmcnt(1)
	v_mul_f32_e32 v10, v33, v3
	v_mul_f32_e32 v30, v33, v2
	s_waitcnt vmcnt(0) lgkmcnt(0)
	v_mul_f32_e32 v37, v48, v18
	v_fmac_f32_e32 v10, v32, v2
	v_fma_f32 v2, v32, v3, -v30
	v_cvt_f64_f32_e32 v[31:32], v5
	v_cvt_f32_f64_e32 v30, v[23:24]
	v_mul_f64 v[23:24], v[25:26], s[0:1]
	v_cvt_f64_f32_e32 v[33:34], v10
	v_cvt_f64_f32_e32 v[35:36], v2
	ds_read2_b64 v[2:5], v44 offset0:40 offset1:95
	s_clause 0x1
	buffer_load_dword v50, off, s[20:23], 0 offset:308
	buffer_load_dword v51, off, s[20:23], 0 offset:312
	v_fmac_f32_e32 v37, v47, v17
	v_mul_f32_e32 v17, v48, v17
	v_mad_u64_u32 v[9:10], null, s5, v46, v[9:10]
	s_mulk_i32 s5, 0xce28
	v_cvt_f64_f32_e32 v[25:26], v37
	v_fma_f32 v10, v47, v18, -v17
	v_lshlrev_b64 v[17:18], 3, v[21:22]
	s_add_i32 s5, s6, s5
	v_lshlrev_b64 v[8:9], 3, v[8:9]
	v_cvt_f64_f32_e32 v[46:47], v10
	v_add_co_u32 v10, vcc_lo, s12, v17
	v_add_co_ci_u32_e32 v21, vcc_lo, s13, v18, vcc_lo
	v_mul_f64 v[17:18], v[31:32], s[0:1]
	v_add_co_u32 v8, vcc_lo, v10, v8
	v_mul_f64 v[31:32], v[33:34], s[0:1]
	v_mul_f64 v[33:34], v[35:36], s[0:1]
	v_add_co_ci_u32_e32 v9, vcc_lo, v21, v9, vcc_lo
	v_cvt_f32_f64_e32 v35, v[23:24]
	ds_read2_b64 v[21:24], v38 offset0:114 offset1:169
	v_cvt_f32_f64_e32 v36, v[27:28]
	v_mul_f64 v[25:26], v[25:26], s[0:1]
	v_add_co_u32 v48, vcc_lo, v8, s3
	v_add_co_ci_u32_e32 v49, vcc_lo, s2, v9, vcc_lo
	v_mul_f64 v[27:28], v[46:47], s[0:1]
	v_add_co_u32 v52, vcc_lo, v48, s3
	v_add_co_ci_u32_e32 v53, vcc_lo, s2, v49, vcc_lo
	v_cvt_f32_f64_e32 v14, v[17:18]
	v_add_co_u32 v54, vcc_lo, v52, s3
	v_cvt_f32_f64_e32 v17, v[31:32]
	v_cvt_f32_f64_e32 v18, v[33:34]
	v_add_co_ci_u32_e32 v55, vcc_lo, s2, v53, vcc_lo
	s_waitcnt vmcnt(0) lgkmcnt(1)
	v_mul_f32_e32 v37, v51, v5
	v_fmac_f32_e32 v37, v50, v4
	v_mul_f32_e32 v4, v51, v4
	v_cvt_f64_f32_e32 v[46:47], v37
	v_fma_f32 v5, v50, v5, -v4
	s_clause 0x3
	buffer_load_dword v50, off, s[20:23], 0 offset:300
	buffer_load_dword v51, off, s[20:23], 0 offset:304
	;; [unrolled: 1-line block ×4, first 2 shown]
	v_cvt_f32_f64_e32 v4, v[25:26]
	global_store_dwordx2 v[8:9], v[29:30], off
	v_cvt_f64_f32_e32 v[31:32], v5
	v_cvt_f32_f64_e32 v5, v[27:28]
	v_add_co_u32 v29, vcc_lo, v54, s3
	v_add_co_ci_u32_e32 v30, vcc_lo, s2, v55, vcc_lo
	global_store_dwordx2 v[48:49], v[35:36], off
	v_mul_f64 v[31:32], v[31:32], s[0:1]
	s_waitcnt vmcnt(2) lgkmcnt(0)
	v_mul_f32_e32 v33, v51, v21
	v_mul_f32_e32 v10, v51, v22
	s_waitcnt vmcnt(0)
	v_mul_f32_e32 v37, v57, v12
	v_fma_f32 v25, v50, v22, -v33
	v_fmac_f32_e32 v10, v50, v21
	v_mul_f64 v[21:22], v[46:47], s[0:1]
	v_fmac_f32_e32 v37, v56, v11
	v_cvt_f64_f32_e32 v[46:47], v25
	ds_read2_b64 v[25:28], v39 offset0:74 offset1:129
	global_store_dwordx2 v[52:53], v[13:14], off
	global_store_dwordx2 v[54:55], v[17:18], off
	;; [unrolled: 1-line block ×3, first 2 shown]
	v_cvt_f64_f32_e32 v[33:34], v10
	v_mul_f32_e32 v5, v57, v11
	s_clause 0x3
	buffer_load_dword v10, off, s[20:23], 0 offset:316
	buffer_load_dword v11, off, s[20:23], 0 offset:320
	;; [unrolled: 1-line block ×4, first 2 shown]
	v_cvt_f64_f32_e32 v[50:51], v37
	v_add_co_u32 v29, vcc_lo, v29, s3
	v_fma_f32 v5, v56, v12, -v5
	v_add_co_ci_u32_e32 v30, vcc_lo, s2, v30, vcc_lo
	v_add_co_u32 v49, vcc_lo, v29, s3
	v_cvt_f32_f64_e32 v4, v[21:22]
	v_mul_f64 v[17:18], v[46:47], s[0:1]
	v_mul_f64 v[13:14], v[33:34], s[0:1]
	v_cvt_f64_f32_e32 v[33:34], v5
	v_mul_f64 v[21:22], v[50:51], s[0:1]
	v_add_co_ci_u32_e32 v50, vcc_lo, s2, v30, vcc_lo
	v_cvt_f32_f64_e32 v48, v[17:18]
	v_cvt_f32_f64_e32 v47, v[13:14]
	;; [unrolled: 1-line block ×3, first 2 shown]
	s_waitcnt vmcnt(2) lgkmcnt(0)
	v_mul_f32_e32 v12, v11, v26
	s_waitcnt vmcnt(0)
	v_mul_f32_e32 v37, v36, v16
	v_mul_f32_e32 v9, v36, v15
	;; [unrolled: 1-line block ×3, first 2 shown]
	v_fmac_f32_e32 v12, v10, v25
	v_fmac_f32_e32 v37, v35, v15
	v_fma_f32 v15, v35, v16, -v9
	v_fma_f32 v5, v10, v26, -v8
	ds_read2_b64 v[8:11], v45 offset0:112 offset1:167
	v_cvt_f64_f32_e32 v[25:26], v12
	v_mul_f64 v[16:17], v[33:34], s[0:1]
	v_cvt_f64_f32_e32 v[45:46], v15
	ds_read2_b64 v[12:15], v44 offset0:150 offset1:205
	s_clause 0x1
	buffer_load_dword v51, off, s[20:23], 0 offset:276
	buffer_load_dword v52, off, s[20:23], 0 offset:280
	v_cvt_f64_f32_e32 v[35:36], v5
	v_cvt_f32_f64_e32 v5, v[31:32]
	v_cvt_f64_f32_e32 v[31:32], v37
	v_mul_f64 v[25:26], v[25:26], s[0:1]
	v_mul_f64 v[33:34], v[35:36], s[0:1]
	;; [unrolled: 1-line block ×4, first 2 shown]
	v_cvt_f32_f64_e32 v25, v[25:26]
	v_cvt_f32_f64_e32 v26, v[33:34]
	;; [unrolled: 1-line block ×4, first 2 shown]
	s_waitcnt vmcnt(0) lgkmcnt(1)
	v_mul_f32_e32 v18, v52, v9
	v_fmac_f32_e32 v18, v51, v8
	v_mul_f32_e32 v8, v52, v8
	s_clause 0x1
	buffer_load_dword v52, off, s[20:23], 0 offset:252
	buffer_load_dword v53, off, s[20:23], 0 offset:256
	v_cvt_f64_f32_e32 v[44:45], v18
	v_fma_f32 v8, v51, v9, -v8
	v_cvt_f64_f32_e32 v[8:9], v8
	v_mul_f64 v[33:34], v[44:45], s[0:1]
	v_mul_f64 v[8:9], v[8:9], s[0:1]
	s_waitcnt vmcnt(0)
	v_mul_f32_e32 v22, v53, v20
	v_mul_f32_e32 v37, v53, v19
	s_clause 0x3
	buffer_load_dword v53, off, s[20:23], 0 offset:260
	buffer_load_dword v54, off, s[20:23], 0 offset:264
	;; [unrolled: 1-line block ×4, first 2 shown]
	v_fmac_f32_e32 v22, v52, v19
	v_fma_f32 v20, v52, v20, -v37
	v_cvt_f64_f32_e32 v[18:19], v22
	v_cvt_f32_f64_e32 v22, v[16:17]
	v_mul_f64 v[44:45], v[18:19], s[0:1]
	s_waitcnt vmcnt(2) lgkmcnt(0)
	v_mul_f32_e32 v46, v54, v13
	v_mul_f32_e32 v51, v54, v12
	s_waitcnt vmcnt(0)
	v_mul_f32_e32 v18, v60, v23
	v_fmac_f32_e32 v46, v53, v12
	v_fma_f32 v37, v53, v13, -v51
	v_cvt_f64_f32_e32 v[12:13], v20
	v_mul_f32_e32 v20, v60, v24
	v_add_co_u32 v53, vcc_lo, v49, s4
	v_cvt_f64_f32_e32 v[16:17], v46
	v_add_co_ci_u32_e32 v54, vcc_lo, s5, v50, vcc_lo
	v_fmac_f32_e32 v20, v59, v23
	v_add_co_u32 v35, vcc_lo, v53, s3
	v_add_co_ci_u32_e32 v36, vcc_lo, s2, v54, vcc_lo
	v_cvt_f64_f32_e32 v[57:58], v20
	v_fma_f32 v20, v59, v24, -v18
	v_add_co_u32 v59, vcc_lo, v35, s3
	v_add_co_ci_u32_e32 v60, vcc_lo, s2, v36, vcc_lo
	v_cvt_f64_f32_e32 v[61:62], v20
	v_cvt_f32_f64_e32 v24, v[44:45]
	v_cvt_f64_f32_e32 v[51:52], v37
	v_mul_f64 v[12:13], v[12:13], s[0:1]
	v_mul_f64 v[55:56], v[16:17], s[0:1]
	ds_read2_b64 v[16:19], v68 offset0:110 offset1:165
	global_store_dwordx2 v[29:30], v[4:5], off
	global_store_dwordx2 v[49:50], v[47:48], off
	;; [unrolled: 1-line block ×5, first 2 shown]
	ds_read2_b64 v[20:23], v43 offset0:148 offset1:203
	s_clause 0x1
	buffer_load_dword v44, off, s[20:23], 0 offset:148
	buffer_load_dword v45, off, s[20:23], 0 offset:152
	v_cvt_f32_f64_e32 v4, v[33:34]
	v_cvt_f32_f64_e32 v5, v[8:9]
	v_add_co_u32 v8, vcc_lo, v59, s3
	v_mul_f64 v[33:34], v[57:58], s[0:1]
	v_add_co_ci_u32_e32 v9, vcc_lo, s2, v60, vcc_lo
	v_mul_f64 v[35:36], v[61:62], s[0:1]
	v_mul_f64 v[51:52], v[51:52], s[0:1]
	v_cvt_f32_f64_e32 v25, v[12:13]
	v_cvt_f32_f64_e32 v12, v[55:56]
	v_cvt_f32_f64_e32 v33, v[33:34]
	v_cvt_f32_f64_e32 v34, v[35:36]
	v_cvt_f32_f64_e32 v13, v[51:52]
	s_waitcnt vmcnt(0) lgkmcnt(1)
	v_mul_f32_e32 v26, v45, v17
	v_mul_f32_e32 v37, v45, v16
	s_clause 0x1
	buffer_load_dword v45, off, s[20:23], 0 offset:220
	buffer_load_dword v46, off, s[20:23], 0 offset:224
	ds_read2_b64 v[29:32], v41 offset0:186 offset1:241
	s_clause 0x1
	buffer_load_dword v49, off, s[20:23], 0 offset:212
	buffer_load_dword v50, off, s[20:23], 0 offset:216
	v_fmac_f32_e32 v26, v44, v16
	v_fma_f32 v37, v44, v17, -v37
	v_cvt_f64_f32_e32 v[16:17], v26
	v_mul_f64 v[16:17], v[16:17], s[0:1]
	v_cvt_f32_f64_e32 v16, v[16:17]
	s_waitcnt vmcnt(2)
	v_mul_f32_e32 v41, v46, v27
	v_mul_f32_e32 v43, v46, v28
	s_waitcnt vmcnt(0) lgkmcnt(1)
	v_mul_f32_e32 v47, v50, v21
	v_fma_f32 v28, v45, v28, -v41
	v_fmac_f32_e32 v43, v45, v27
	v_fmac_f32_e32 v47, v49, v20
	v_mul_f32_e32 v20, v50, v20
	s_clause 0x3
	buffer_load_dword v50, off, s[20:23], 0 offset:228
	buffer_load_dword v51, off, s[20:23], 0 offset:232
	;; [unrolled: 1-line block ×4, first 2 shown]
	v_cvt_f64_f32_e32 v[26:27], v37
	v_cvt_f64_f32_e32 v[45:46], v28
	v_fma_f32 v20, v49, v21, -v20
	v_cvt_f64_f32_e32 v[47:48], v47
	v_cvt_f64_f32_e32 v[43:44], v43
	v_mul_f64 v[26:27], v[26:27], s[0:1]
	v_cvt_f32_f64_e32 v17, v[26:27]
	s_waitcnt vmcnt(2)
	v_mul_f32_e32 v41, v51, v10
	v_mul_f32_e32 v37, v51, v11
	s_waitcnt vmcnt(0) lgkmcnt(0)
	v_mul_f32_e32 v51, v53, v29
	v_fma_f32 v28, v50, v11, -v41
	v_mul_f32_e32 v41, v53, v30
	v_fmac_f32_e32 v37, v50, v10
	v_cvt_f64_f32_e32 v[10:11], v20
	v_fma_f32 v30, v52, v30, -v51
	v_cvt_f64_f32_e32 v[49:50], v28
	v_add_co_u32 v28, vcc_lo, v8, s3
	v_fmac_f32_e32 v41, v52, v29
	v_add_co_ci_u32_e32 v29, vcc_lo, s2, v9, vcc_lo
	v_add_co_u32 v55, vcc_lo, v28, s3
	v_cvt_f64_f32_e32 v[51:52], v41
	v_add_co_ci_u32_e32 v56, vcc_lo, s2, v29, vcc_lo
	global_store_dwordx2 v[8:9], v[4:5], off
	global_store_dwordx2 v[28:29], v[24:25], off
	;; [unrolled: 1-line block ×3, first 2 shown]
	s_clause 0x1
	buffer_load_dword v57, off, s[20:23], 0 offset:204
	buffer_load_dword v58, off, s[20:23], 0 offset:208
	v_mul_f64 v[12:13], v[45:46], s[0:1]
	v_mul_f64 v[24:25], v[47:48], s[0:1]
	;; [unrolled: 1-line block ×3, first 2 shown]
	v_add_co_u32 v43, vcc_lo, v55, s3
	v_add_co_ci_u32_e32 v44, vcc_lo, s2, v56, vcc_lo
	v_mul_f64 v[28:29], v[10:11], s[0:1]
	v_mul_f64 v[35:36], v[49:50], s[0:1]
	ds_read2_b64 v[8:11], v42 offset0:96 offset1:151
	global_store_dwordx2 v[43:44], v[33:34], off
	s_clause 0x1
	buffer_load_dword v49, off, s[20:23], 0 offset:188
	buffer_load_dword v50, off, s[20:23], 0 offset:192
	v_cvt_f64_f32_e32 v[20:21], v37
	v_cvt_f64_f32_e32 v[53:54], v30
	v_add_co_u32 v26, vcc_lo, v43, s4
	v_mul_f64 v[45:46], v[51:52], s[0:1]
	v_add_co_ci_u32_e32 v27, vcc_lo, s5, v44, vcc_lo
	v_add_co_u32 v33, vcc_lo, v26, s3
	v_add_co_ci_u32_e32 v34, vcc_lo, s2, v27, vcc_lo
	v_cvt_f32_f64_e32 v24, v[24:25]
	v_cvt_f32_f64_e32 v4, v[4:5]
	;; [unrolled: 1-line block ×4, first 2 shown]
	v_mul_f64 v[20:21], v[20:21], s[0:1]
	v_mul_f64 v[47:48], v[53:54], s[0:1]
	v_cvt_f32_f64_e32 v28, v[45:46]
	s_clause 0x1
	buffer_load_dword v45, off, s[20:23], 0 offset:196
	buffer_load_dword v46, off, s[20:23], 0 offset:200
	global_store_dwordx2 v[26:27], v[16:17], off
	global_store_dwordx2 v[33:34], v[4:5], off
	v_cvt_f32_f64_e32 v20, v[20:21]
	v_cvt_f32_f64_e32 v21, v[35:36]
	;; [unrolled: 1-line block ×3, first 2 shown]
	s_waitcnt vmcnt(4)
	v_mul_f32_e32 v30, v58, v15
	v_mul_f32_e32 v12, v58, v14
	v_fmac_f32_e32 v30, v57, v14
	v_fma_f32 v12, v57, v15, -v12
	v_cvt_f64_f32_e32 v[41:42], v30
	s_waitcnt vmcnt(2) lgkmcnt(0)
	v_mul_f32_e32 v13, v50, v9
	v_fmac_f32_e32 v13, v49, v8
	v_mul_f32_e32 v8, v50, v8
	v_cvt_f64_f32_e32 v[43:44], v13
	v_mul_f64 v[35:36], v[41:42], s[0:1]
	v_cvt_f64_f32_e32 v[41:42], v12
	v_fma_f32 v12, v49, v9, -v8
	v_add_co_u32 v8, vcc_lo, v33, s3
	v_add_co_ci_u32_e32 v9, vcc_lo, s2, v34, vcc_lo
	s_waitcnt vmcnt(0)
	v_mul_f32_e32 v30, v46, v19
	v_mul_f32_e32 v14, v46, v18
	v_add_co_u32 v26, vcc_lo, v8, s3
	v_add_co_ci_u32_e32 v27, vcc_lo, s2, v9, vcc_lo
	v_fmac_f32_e32 v30, v45, v18
	v_fma_f32 v18, v45, v19, -v14
	v_cvt_f64_f32_e32 v[45:46], v12
	ds_read2_b64 v[12:15], v39 offset0:184 offset1:239
	v_add_co_u32 v39, vcc_lo, v26, s3
	v_cvt_f64_f32_e32 v[49:50], v18
	ds_read2_b64 v[16:19], v40 offset0:94 offset1:149
	v_add_co_ci_u32_e32 v40, vcc_lo, s2, v27, vcc_lo
	global_store_dwordx2 v[8:9], v[24:25], off
	global_store_dwordx2 v[26:27], v[20:21], off
	;; [unrolled: 1-line block ×3, first 2 shown]
	v_cvt_f32_f64_e32 v8, v[35:36]
	s_clause 0x1
	buffer_load_dword v35, off, s[20:23], 0 offset:172
	buffer_load_dword v36, off, s[20:23], 0 offset:176
	v_mul_f64 v[4:5], v[41:42], s[0:1]
	s_clause 0x1
	buffer_load_dword v41, off, s[20:23], 0 offset:180
	buffer_load_dword v42, off, s[20:23], 0 offset:184
	v_cvt_f64_f32_e32 v[47:48], v30
	v_mul_f64 v[24:25], v[43:44], s[0:1]
	v_mul_f64 v[26:27], v[45:46], s[0:1]
	s_clause 0x1
	buffer_load_dword v45, off, s[20:23], 0 offset:164
	buffer_load_dword v46, off, s[20:23], 0 offset:168
	v_mul_f64 v[33:34], v[49:50], s[0:1]
	v_mul_f64 v[28:29], v[47:48], s[0:1]
	v_cvt_f32_f64_e32 v24, v[24:25]
	v_cvt_f32_f64_e32 v25, v[26:27]
	;; [unrolled: 1-line block ×4, first 2 shown]
	s_waitcnt vmcnt(4) lgkmcnt(1)
	v_mul_f32_e32 v20, v36, v12
	v_mul_f32_e32 v9, v36, v13
	s_waitcnt vmcnt(2)
	v_mul_f32_e32 v21, v42, v23
	v_mul_f32_e32 v30, v42, v22
	v_fma_f32 v20, v35, v13, -v20
	v_fmac_f32_e32 v9, v35, v12
	v_fmac_f32_e32 v21, v41, v22
	v_cvt_f64_f32_e32 v[35:36], v20
	v_fma_f32 v20, v41, v23, -v30
	v_cvt_f64_f32_e32 v[12:13], v9
	v_cvt_f32_f64_e32 v9, v[4:5]
	v_cvt_f64_f32_e32 v[4:5], v21
	s_waitcnt vmcnt(0) lgkmcnt(0)
	v_mul_f32_e32 v37, v46, v17
	v_cvt_f64_f32_e32 v[41:42], v20
	ds_read2_b64 v[20:23], v38 offset0:4 offset1:59
	s_clause 0x1
	buffer_load_dword v47, off, s[20:23], 0 offset:140
	buffer_load_dword v48, off, s[20:23], 0 offset:144
	v_fmac_f32_e32 v37, v45, v16
	v_mul_f32_e32 v16, v46, v16
	v_cvt_f64_f32_e32 v[43:44], v37
	v_fma_f32 v30, v45, v17, -v16
	v_add_co_u32 v16, vcc_lo, v39, s3
	v_add_co_ci_u32_e32 v17, vcc_lo, s2, v40, vcc_lo
	v_cvt_f64_f32_e32 v[26:27], v30
	v_add_co_u32 v37, vcc_lo, v16, s3
	v_add_co_ci_u32_e32 v38, vcc_lo, s2, v17, vcc_lo
	v_mul_f64 v[33:34], v[35:36], s[0:1]
	v_add_co_u32 v35, vcc_lo, v37, s4
	v_add_co_ci_u32_e32 v36, vcc_lo, s5, v38, vcc_lo
	v_mul_f64 v[39:40], v[41:42], s[0:1]
	v_mul_f64 v[12:13], v[12:13], s[0:1]
	;; [unrolled: 1-line block ×5, first 2 shown]
	v_cvt_f32_f64_e32 v4, v[4:5]
	v_cvt_f32_f64_e32 v5, v[39:40]
	s_waitcnt vmcnt(0)
	v_mul_f32_e32 v30, v48, v32
	v_mul_f32_e32 v45, v48, v31
	s_clause 0x1
	buffer_load_dword v48, off, s[20:23], 0 offset:156
	buffer_load_dword v49, off, s[20:23], 0 offset:160
	global_store_dwordx2 v[16:17], v[8:9], off
	global_store_dwordx2 v[37:38], v[24:25], off
	;; [unrolled: 1-line block ×3, first 2 shown]
	v_add_co_u32 v16, vcc_lo, v35, s3
	v_add_co_ci_u32_e32 v17, vcc_lo, s2, v36, vcc_lo
	s_clause 0x1
	buffer_load_dword v36, off, s[20:23], 0 offset:116
	buffer_load_dword v37, off, s[20:23], 0 offset:120
	v_fma_f32 v32, v47, v32, -v45
	v_cvt_f32_f64_e32 v8, v[12:13]
	v_cvt_f32_f64_e32 v9, v[33:34]
	;; [unrolled: 1-line block ×4, first 2 shown]
	v_cvt_f64_f32_e32 v[43:44], v32
	v_fmac_f32_e32 v30, v47, v31
	v_cvt_f64_f32_e32 v[30:31], v30
	v_mul_f64 v[28:29], v[43:44], s[0:1]
	v_mul_f64 v[26:27], v[30:31], s[0:1]
	s_waitcnt vmcnt(2) lgkmcnt(0)
	v_mul_f32_e32 v46, v49, v21
	v_fmac_f32_e32 v46, v48, v20
	s_waitcnt vmcnt(0)
	v_mul_f32_e32 v32, v37, v11
	v_mul_f32_e32 v20, v49, v20
	v_cvt_f64_f32_e32 v[45:46], v46
	v_fmac_f32_e32 v32, v36, v10
	v_mul_f32_e32 v10, v37, v10
	s_clause 0x1
	buffer_load_dword v37, off, s[20:23], 0 offset:132
	buffer_load_dword v38, off, s[20:23], 0 offset:136
	v_fma_f32 v20, v48, v21, -v20
	global_store_dwordx2 v[16:17], v[8:9], off
	v_cvt_f64_f32_e32 v[32:33], v32
	v_fma_f32 v10, v36, v11, -v10
	v_cvt_f64_f32_e32 v[12:13], v20
	v_add_co_u32 v20, vcc_lo, v16, s3
	v_add_co_ci_u32_e32 v21, vcc_lo, s2, v17, vcc_lo
	v_cvt_f64_f32_e32 v[10:11], v10
	v_mul_f64 v[30:31], v[45:46], s[0:1]
	v_mul_f64 v[12:13], v[12:13], s[0:1]
	;; [unrolled: 1-line block ×3, first 2 shown]
	s_waitcnt vmcnt(0)
	v_mul_f32_e32 v34, v38, v7
	v_mul_f32_e32 v35, v38, v6
	v_fmac_f32_e32 v34, v37, v6
	v_add_co_u32 v6, vcc_lo, v20, s3
	v_fma_f32 v35, v37, v7, -v35
	v_add_co_ci_u32_e32 v7, vcc_lo, s2, v21, vcc_lo
	global_store_dwordx2 v[20:21], v[4:5], off
	global_store_dwordx2 v[6:7], v[24:25], off
	v_cvt_f32_f64_e32 v5, v[28:29]
	s_clause 0x1
	buffer_load_dword v28, off, s[20:23], 0 offset:124
	buffer_load_dword v29, off, s[20:23], 0 offset:128
	v_cvt_f64_f32_e32 v[16:17], v35
	v_cvt_f32_f64_e32 v4, v[26:27]
	v_cvt_f32_f64_e32 v20, v[30:31]
	v_cvt_f64_f32_e32 v[8:9], v34
	v_mul_f64 v[24:25], v[32:33], s[0:1]
	v_cvt_f32_f64_e32 v21, v[12:13]
	v_add_co_u32 v6, vcc_lo, v6, s3
	v_add_co_ci_u32_e32 v7, vcc_lo, s2, v7, vcc_lo
	v_add_co_u32 v12, vcc_lo, v6, s3
	v_add_co_ci_u32_e32 v13, vcc_lo, s2, v7, vcc_lo
	v_mul_f64 v[8:9], v[8:9], s[0:1]
	v_cvt_f32_f64_e32 v8, v[8:9]
	s_waitcnt vmcnt(0)
	v_mul_f32_e32 v26, v29, v15
	v_mul_f32_e32 v27, v29, v14
	v_fmac_f32_e32 v26, v28, v14
	v_fma_f32 v28, v28, v15, -v27
	v_mul_f64 v[14:15], v[16:17], s[0:1]
	v_cvt_f64_f32_e32 v[16:17], v26
	ds_read_b64 v[26:27], v68 offset:14960
	s_clause 0x1
	buffer_load_dword v35, off, s[20:23], 0 offset:84
	buffer_load_dword v36, off, s[20:23], 0 offset:88
	v_cvt_f64_f32_e32 v[28:29], v28
	v_cvt_f32_f64_e32 v9, v[14:15]
	s_waitcnt vmcnt(0)
	v_mul_f32_e32 v30, v36, v1
	v_mul_f32_e32 v31, v36, v0
	s_clause 0x3
	buffer_load_dword v36, off, s[20:23], 0 offset:92
	buffer_load_dword v37, off, s[20:23], 0 offset:96
	;; [unrolled: 1-line block ×4, first 2 shown]
	v_fmac_f32_e32 v30, v35, v0
	v_fma_f32 v31, v35, v1, -v31
	v_cvt_f64_f32_e32 v[0:1], v30
	v_mul_f64 v[0:1], v[0:1], s[0:1]
	v_cvt_f32_f64_e32 v0, v[0:1]
	s_waitcnt vmcnt(2)
	v_mul_f32_e32 v32, v37, v19
	s_waitcnt vmcnt(0)
	v_mul_f32_e32 v34, v41, v3
	v_mul_f32_e32 v33, v37, v18
	v_fmac_f32_e32 v32, v36, v18
	v_fmac_f32_e32 v34, v40, v2
	v_mul_f32_e32 v2, v41, v2
	s_clause 0x1
	buffer_load_dword v41, off, s[20:23], 0 offset:100
	buffer_load_dword v42, off, s[20:23], 0 offset:104
	v_fma_f32 v33, v36, v19, -v33
	v_cvt_f64_f32_e32 v[18:19], v31
	v_cvt_f64_f32_e32 v[30:31], v32
	v_fma_f32 v2, v40, v3, -v2
	v_cvt_f64_f32_e32 v[34:35], v34
	v_cvt_f64_f32_e32 v[32:33], v33
	;; [unrolled: 1-line block ×3, first 2 shown]
	v_mul_f64 v[14:15], v[30:31], s[0:1]
	v_mul_f64 v[2:3], v[2:3], s[0:1]
	v_cvt_f32_f64_e32 v14, v[14:15]
	s_waitcnt vmcnt(0)
	v_mul_f32_e32 v36, v42, v23
	v_mul_f32_e32 v37, v42, v22
	s_clause 0x1
	buffer_load_dword v42, off, s[20:23], 0 offset:108
	buffer_load_dword v43, off, s[20:23], 0 offset:112
	global_store_dwordx2 v[6:7], v[4:5], off
	global_store_dwordx2 v[12:13], v[20:21], off
	v_cvt_f32_f64_e32 v5, v[10:11]
	v_fmac_f32_e32 v36, v41, v22
	v_fma_f32 v37, v41, v23, -v37
	v_mul_f64 v[6:7], v[16:17], s[0:1]
	v_mul_f64 v[10:11], v[28:29], s[0:1]
	v_mul_f64 v[16:17], v[18:19], s[0:1]
	v_cvt_f64_f32_e32 v[22:23], v36
	v_mul_f64 v[18:19], v[32:33], s[0:1]
	v_mul_f64 v[20:21], v[34:35], s[0:1]
	v_cvt_f32_f64_e32 v4, v[24:25]
	v_add_co_u32 v12, vcc_lo, v12, s3
	v_add_co_ci_u32_e32 v13, vcc_lo, s2, v13, vcc_lo
	v_add_co_u32 v30, vcc_lo, v12, s4
	v_add_co_ci_u32_e32 v31, vcc_lo, s5, v13, vcc_lo
	v_cvt_f32_f64_e32 v6, v[6:7]
	v_cvt_f32_f64_e32 v7, v[10:11]
	v_add_co_u32 v10, vcc_lo, v30, s3
	v_mul_f64 v[22:23], v[22:23], s[0:1]
	v_add_co_ci_u32_e32 v11, vcc_lo, s2, v31, vcc_lo
	v_cvt_f32_f64_e32 v1, v[16:17]
	v_add_co_u32 v16, vcc_lo, v10, s3
	v_add_co_ci_u32_e32 v17, vcc_lo, s2, v11, vcc_lo
	v_cvt_f32_f64_e32 v15, v[18:19]
	v_cvt_f32_f64_e32 v18, v[20:21]
	;; [unrolled: 1-line block ×3, first 2 shown]
	global_store_dwordx2 v[12:13], v[4:5], off
	global_store_dwordx2 v[30:31], v[8:9], off
	;; [unrolled: 1-line block ×3, first 2 shown]
	v_cvt_f32_f64_e32 v2, v[22:23]
	v_add_co_u32 v22, vcc_lo, v16, s3
	v_add_co_ci_u32_e32 v23, vcc_lo, s2, v17, vcc_lo
	v_add_co_u32 v4, vcc_lo, v22, s3
	v_add_co_ci_u32_e32 v5, vcc_lo, s2, v23, vcc_lo
	;; [unrolled: 2-line block ×4, first 2 shown]
	s_waitcnt vmcnt(0) lgkmcnt(0)
	v_mul_f32_e32 v38, v43, v27
	v_mul_f32_e32 v39, v43, v26
	v_fmac_f32_e32 v38, v42, v26
	v_fma_f32 v39, v42, v27, -v39
	v_cvt_f64_f32_e32 v[26:27], v37
	v_cvt_f64_f32_e32 v[36:37], v38
	;; [unrolled: 1-line block ×3, first 2 shown]
	v_mul_f64 v[24:25], v[26:27], s[0:1]
	v_mul_f64 v[26:27], v[36:37], s[0:1]
	;; [unrolled: 1-line block ×3, first 2 shown]
	v_cvt_f32_f64_e32 v3, v[24:25]
	v_cvt_f32_f64_e32 v20, v[26:27]
	;; [unrolled: 1-line block ×3, first 2 shown]
	global_store_dwordx2 v[16:17], v[0:1], off
	global_store_dwordx2 v[22:23], v[14:15], off
	;; [unrolled: 1-line block ×5, first 2 shown]
.LBB0_10:
	s_endpgm
	.section	.rodata,"a",@progbits
	.p2align	6, 0x0
	.amdhsa_kernel bluestein_single_back_len1925_dim1_sp_op_CI_CI
		.amdhsa_group_segment_fixed_size 15400
		.amdhsa_private_segment_fixed_size 592
		.amdhsa_kernarg_size 104
		.amdhsa_user_sgpr_count 6
		.amdhsa_user_sgpr_private_segment_buffer 1
		.amdhsa_user_sgpr_dispatch_ptr 0
		.amdhsa_user_sgpr_queue_ptr 0
		.amdhsa_user_sgpr_kernarg_segment_ptr 1
		.amdhsa_user_sgpr_dispatch_id 0
		.amdhsa_user_sgpr_flat_scratch_init 0
		.amdhsa_user_sgpr_private_segment_size 0
		.amdhsa_wavefront_size32 1
		.amdhsa_uses_dynamic_stack 0
		.amdhsa_system_sgpr_private_segment_wavefront_offset 1
		.amdhsa_system_sgpr_workgroup_id_x 1
		.amdhsa_system_sgpr_workgroup_id_y 0
		.amdhsa_system_sgpr_workgroup_id_z 0
		.amdhsa_system_sgpr_workgroup_info 0
		.amdhsa_system_vgpr_workitem_id 0
		.amdhsa_next_free_vgpr 256
		.amdhsa_next_free_sgpr 24
		.amdhsa_reserve_vcc 1
		.amdhsa_reserve_flat_scratch 0
		.amdhsa_float_round_mode_32 0
		.amdhsa_float_round_mode_16_64 0
		.amdhsa_float_denorm_mode_32 3
		.amdhsa_float_denorm_mode_16_64 3
		.amdhsa_dx10_clamp 1
		.amdhsa_ieee_mode 1
		.amdhsa_fp16_overflow 0
		.amdhsa_workgroup_processor_mode 1
		.amdhsa_memory_ordered 1
		.amdhsa_forward_progress 0
		.amdhsa_shared_vgpr_count 0
		.amdhsa_exception_fp_ieee_invalid_op 0
		.amdhsa_exception_fp_denorm_src 0
		.amdhsa_exception_fp_ieee_div_zero 0
		.amdhsa_exception_fp_ieee_overflow 0
		.amdhsa_exception_fp_ieee_underflow 0
		.amdhsa_exception_fp_ieee_inexact 0
		.amdhsa_exception_int_div_zero 0
	.end_amdhsa_kernel
	.text
.Lfunc_end0:
	.size	bluestein_single_back_len1925_dim1_sp_op_CI_CI, .Lfunc_end0-bluestein_single_back_len1925_dim1_sp_op_CI_CI
                                        ; -- End function
	.section	.AMDGPU.csdata,"",@progbits
; Kernel info:
; codeLenInByte = 48740
; NumSgprs: 26
; NumVgprs: 256
; ScratchSize: 592
; MemoryBound: 0
; FloatMode: 240
; IeeeMode: 1
; LDSByteSize: 15400 bytes/workgroup (compile time only)
; SGPRBlocks: 3
; VGPRBlocks: 31
; NumSGPRsForWavesPerEU: 26
; NumVGPRsForWavesPerEU: 256
; Occupancy: 4
; WaveLimiterHint : 1
; COMPUTE_PGM_RSRC2:SCRATCH_EN: 1
; COMPUTE_PGM_RSRC2:USER_SGPR: 6
; COMPUTE_PGM_RSRC2:TRAP_HANDLER: 0
; COMPUTE_PGM_RSRC2:TGID_X_EN: 1
; COMPUTE_PGM_RSRC2:TGID_Y_EN: 0
; COMPUTE_PGM_RSRC2:TGID_Z_EN: 0
; COMPUTE_PGM_RSRC2:TIDIG_COMP_CNT: 0
	.text
	.p2alignl 6, 3214868480
	.fill 48, 4, 3214868480
	.type	__hip_cuid_efba1949990a61c6,@object ; @__hip_cuid_efba1949990a61c6
	.section	.bss,"aw",@nobits
	.globl	__hip_cuid_efba1949990a61c6
__hip_cuid_efba1949990a61c6:
	.byte	0                               ; 0x0
	.size	__hip_cuid_efba1949990a61c6, 1

	.ident	"AMD clang version 19.0.0git (https://github.com/RadeonOpenCompute/llvm-project roc-6.4.0 25133 c7fe45cf4b819c5991fe208aaa96edf142730f1d)"
	.section	".note.GNU-stack","",@progbits
	.addrsig
	.addrsig_sym __hip_cuid_efba1949990a61c6
	.amdgpu_metadata
---
amdhsa.kernels:
  - .args:
      - .actual_access:  read_only
        .address_space:  global
        .offset:         0
        .size:           8
        .value_kind:     global_buffer
      - .actual_access:  read_only
        .address_space:  global
        .offset:         8
        .size:           8
        .value_kind:     global_buffer
      - .actual_access:  read_only
        .address_space:  global
        .offset:         16
        .size:           8
        .value_kind:     global_buffer
      - .actual_access:  read_only
        .address_space:  global
        .offset:         24
        .size:           8
        .value_kind:     global_buffer
      - .actual_access:  read_only
        .address_space:  global
        .offset:         32
        .size:           8
        .value_kind:     global_buffer
      - .offset:         40
        .size:           8
        .value_kind:     by_value
      - .address_space:  global
        .offset:         48
        .size:           8
        .value_kind:     global_buffer
      - .address_space:  global
        .offset:         56
        .size:           8
        .value_kind:     global_buffer
      - .address_space:  global
        .offset:         64
        .size:           8
        .value_kind:     global_buffer
      - .address_space:  global
        .offset:         72
        .size:           8
        .value_kind:     global_buffer
      - .offset:         80
        .size:           4
        .value_kind:     by_value
      - .address_space:  global
        .offset:         88
        .size:           8
        .value_kind:     global_buffer
      - .address_space:  global
        .offset:         96
        .size:           8
        .value_kind:     global_buffer
    .group_segment_fixed_size: 15400
    .kernarg_segment_align: 8
    .kernarg_segment_size: 104
    .language:       OpenCL C
    .language_version:
      - 2
      - 0
    .max_flat_workgroup_size: 55
    .name:           bluestein_single_back_len1925_dim1_sp_op_CI_CI
    .private_segment_fixed_size: 592
    .sgpr_count:     26
    .sgpr_spill_count: 0
    .symbol:         bluestein_single_back_len1925_dim1_sp_op_CI_CI.kd
    .uniform_work_group_size: 1
    .uses_dynamic_stack: false
    .vgpr_count:     256
    .vgpr_spill_count: 165
    .wavefront_size: 32
    .workgroup_processor_mode: 1
amdhsa.target:   amdgcn-amd-amdhsa--gfx1030
amdhsa.version:
  - 1
  - 2
...

	.end_amdgpu_metadata
